;; amdgpu-corpus repo=ROCm/rocFFT kind=compiled arch=gfx1201 opt=O3
	.text
	.amdgcn_target "amdgcn-amd-amdhsa--gfx1201"
	.amdhsa_code_object_version 6
	.protected	fft_rtc_back_len1755_factors_13_3_3_3_5_wgs_117_tpt_117_halfLds_half_ip_CI_sbrr_dirReg ; -- Begin function fft_rtc_back_len1755_factors_13_3_3_3_5_wgs_117_tpt_117_halfLds_half_ip_CI_sbrr_dirReg
	.globl	fft_rtc_back_len1755_factors_13_3_3_3_5_wgs_117_tpt_117_halfLds_half_ip_CI_sbrr_dirReg
	.p2align	8
	.type	fft_rtc_back_len1755_factors_13_3_3_3_5_wgs_117_tpt_117_halfLds_half_ip_CI_sbrr_dirReg,@function
fft_rtc_back_len1755_factors_13_3_3_3_5_wgs_117_tpt_117_halfLds_half_ip_CI_sbrr_dirReg: ; @fft_rtc_back_len1755_factors_13_3_3_3_5_wgs_117_tpt_117_halfLds_half_ip_CI_sbrr_dirReg
; %bb.0:
	s_clause 0x2
	s_load_b64 s[12:13], s[0:1], 0x18
	s_load_b128 s[4:7], s[0:1], 0x0
	s_load_b64 s[10:11], s[0:1], 0x50
	v_mul_u32_u24_e32 v1, 0x231, v0
	v_mov_b32_e32 v3, 0
	s_delay_alu instid0(VALU_DEP_2) | instskip(NEXT) | instid1(VALU_DEP_1)
	v_lshrrev_b32_e32 v1, 16, v1
	v_add_nc_u32_e32 v5, ttmp9, v1
	v_mov_b32_e32 v1, 0
	v_mov_b32_e32 v2, 0
	;; [unrolled: 1-line block ×3, first 2 shown]
	s_wait_kmcnt 0x0
	s_load_b64 s[8:9], s[12:13], 0x0
	v_cmp_lt_u64_e64 s2, s[6:7], 2
	s_delay_alu instid0(VALU_DEP_1)
	s_and_b32 vcc_lo, exec_lo, s2
	s_cbranch_vccnz .LBB0_8
; %bb.1:
	s_load_b64 s[2:3], s[0:1], 0x10
	v_mov_b32_e32 v1, 0
	v_mov_b32_e32 v2, 0
	s_add_nc_u64 s[14:15], s[12:13], 8
	s_mov_b64 s[16:17], 1
	s_wait_kmcnt 0x0
	s_add_nc_u64 s[18:19], s[2:3], 8
	s_mov_b32 s3, 0
.LBB0_2:                                ; =>This Inner Loop Header: Depth=1
	s_load_b64 s[20:21], s[18:19], 0x0
                                        ; implicit-def: $vgpr7_vgpr8
	s_mov_b32 s2, exec_lo
	s_wait_kmcnt 0x0
	v_or_b32_e32 v4, s21, v6
	s_delay_alu instid0(VALU_DEP_1)
	v_cmpx_ne_u64_e32 0, v[3:4]
	s_wait_alu 0xfffe
	s_xor_b32 s22, exec_lo, s2
	s_cbranch_execz .LBB0_4
; %bb.3:                                ;   in Loop: Header=BB0_2 Depth=1
	s_cvt_f32_u32 s2, s20
	s_cvt_f32_u32 s23, s21
	s_sub_nc_u64 s[26:27], 0, s[20:21]
	s_wait_alu 0xfffe
	s_delay_alu instid0(SALU_CYCLE_1) | instskip(SKIP_1) | instid1(SALU_CYCLE_2)
	s_fmamk_f32 s2, s23, 0x4f800000, s2
	s_wait_alu 0xfffe
	v_s_rcp_f32 s2, s2
	s_delay_alu instid0(TRANS32_DEP_1) | instskip(SKIP_1) | instid1(SALU_CYCLE_2)
	s_mul_f32 s2, s2, 0x5f7ffffc
	s_wait_alu 0xfffe
	s_mul_f32 s23, s2, 0x2f800000
	s_wait_alu 0xfffe
	s_delay_alu instid0(SALU_CYCLE_2) | instskip(SKIP_1) | instid1(SALU_CYCLE_2)
	s_trunc_f32 s23, s23
	s_wait_alu 0xfffe
	s_fmamk_f32 s2, s23, 0xcf800000, s2
	s_cvt_u32_f32 s25, s23
	s_wait_alu 0xfffe
	s_delay_alu instid0(SALU_CYCLE_1) | instskip(SKIP_1) | instid1(SALU_CYCLE_2)
	s_cvt_u32_f32 s24, s2
	s_wait_alu 0xfffe
	s_mul_u64 s[28:29], s[26:27], s[24:25]
	s_wait_alu 0xfffe
	s_mul_hi_u32 s31, s24, s29
	s_mul_i32 s30, s24, s29
	s_mul_hi_u32 s2, s24, s28
	s_mul_i32 s33, s25, s28
	s_wait_alu 0xfffe
	s_add_nc_u64 s[30:31], s[2:3], s[30:31]
	s_mul_hi_u32 s23, s25, s28
	s_mul_hi_u32 s34, s25, s29
	s_add_co_u32 s2, s30, s33
	s_wait_alu 0xfffe
	s_add_co_ci_u32 s2, s31, s23
	s_mul_i32 s28, s25, s29
	s_add_co_ci_u32 s29, s34, 0
	s_wait_alu 0xfffe
	s_add_nc_u64 s[28:29], s[2:3], s[28:29]
	s_wait_alu 0xfffe
	v_add_co_u32 v4, s2, s24, s28
	s_delay_alu instid0(VALU_DEP_1) | instskip(SKIP_1) | instid1(VALU_DEP_1)
	s_cmp_lg_u32 s2, 0
	s_add_co_ci_u32 s25, s25, s29
	v_readfirstlane_b32 s24, v4
	s_wait_alu 0xfffe
	s_delay_alu instid0(VALU_DEP_1)
	s_mul_u64 s[26:27], s[26:27], s[24:25]
	s_wait_alu 0xfffe
	s_mul_hi_u32 s29, s24, s27
	s_mul_i32 s28, s24, s27
	s_mul_hi_u32 s2, s24, s26
	s_mul_i32 s30, s25, s26
	s_wait_alu 0xfffe
	s_add_nc_u64 s[28:29], s[2:3], s[28:29]
	s_mul_hi_u32 s23, s25, s26
	s_mul_hi_u32 s24, s25, s27
	s_wait_alu 0xfffe
	s_add_co_u32 s2, s28, s30
	s_add_co_ci_u32 s2, s29, s23
	s_mul_i32 s26, s25, s27
	s_add_co_ci_u32 s27, s24, 0
	s_wait_alu 0xfffe
	s_add_nc_u64 s[26:27], s[2:3], s[26:27]
	s_wait_alu 0xfffe
	v_add_co_u32 v4, s2, v4, s26
	s_delay_alu instid0(VALU_DEP_1) | instskip(SKIP_1) | instid1(VALU_DEP_1)
	s_cmp_lg_u32 s2, 0
	s_add_co_ci_u32 s2, s25, s27
	v_mul_hi_u32 v13, v5, v4
	s_wait_alu 0xfffe
	v_mad_co_u64_u32 v[7:8], null, v5, s2, 0
	v_mad_co_u64_u32 v[9:10], null, v6, v4, 0
	;; [unrolled: 1-line block ×3, first 2 shown]
	s_delay_alu instid0(VALU_DEP_3) | instskip(SKIP_1) | instid1(VALU_DEP_4)
	v_add_co_u32 v4, vcc_lo, v13, v7
	s_wait_alu 0xfffd
	v_add_co_ci_u32_e32 v7, vcc_lo, 0, v8, vcc_lo
	s_delay_alu instid0(VALU_DEP_2) | instskip(SKIP_1) | instid1(VALU_DEP_2)
	v_add_co_u32 v4, vcc_lo, v4, v9
	s_wait_alu 0xfffd
	v_add_co_ci_u32_e32 v4, vcc_lo, v7, v10, vcc_lo
	s_wait_alu 0xfffd
	v_add_co_ci_u32_e32 v7, vcc_lo, 0, v12, vcc_lo
	s_delay_alu instid0(VALU_DEP_2) | instskip(SKIP_1) | instid1(VALU_DEP_2)
	v_add_co_u32 v4, vcc_lo, v4, v11
	s_wait_alu 0xfffd
	v_add_co_ci_u32_e32 v9, vcc_lo, 0, v7, vcc_lo
	s_delay_alu instid0(VALU_DEP_2) | instskip(SKIP_1) | instid1(VALU_DEP_3)
	v_mul_lo_u32 v10, s21, v4
	v_mad_co_u64_u32 v[7:8], null, s20, v4, 0
	v_mul_lo_u32 v11, s20, v9
	s_delay_alu instid0(VALU_DEP_2) | instskip(NEXT) | instid1(VALU_DEP_2)
	v_sub_co_u32 v7, vcc_lo, v5, v7
	v_add3_u32 v8, v8, v11, v10
	s_delay_alu instid0(VALU_DEP_1) | instskip(SKIP_1) | instid1(VALU_DEP_1)
	v_sub_nc_u32_e32 v10, v6, v8
	s_wait_alu 0xfffd
	v_subrev_co_ci_u32_e64 v10, s2, s21, v10, vcc_lo
	v_add_co_u32 v11, s2, v4, 2
	s_wait_alu 0xf1ff
	v_add_co_ci_u32_e64 v12, s2, 0, v9, s2
	v_sub_co_u32 v13, s2, v7, s20
	v_sub_co_ci_u32_e32 v8, vcc_lo, v6, v8, vcc_lo
	s_wait_alu 0xf1ff
	v_subrev_co_ci_u32_e64 v10, s2, 0, v10, s2
	s_delay_alu instid0(VALU_DEP_3) | instskip(NEXT) | instid1(VALU_DEP_3)
	v_cmp_le_u32_e32 vcc_lo, s20, v13
	v_cmp_eq_u32_e64 s2, s21, v8
	s_wait_alu 0xfffd
	v_cndmask_b32_e64 v13, 0, -1, vcc_lo
	v_cmp_le_u32_e32 vcc_lo, s21, v10
	s_wait_alu 0xfffd
	v_cndmask_b32_e64 v14, 0, -1, vcc_lo
	v_cmp_le_u32_e32 vcc_lo, s20, v7
	;; [unrolled: 3-line block ×3, first 2 shown]
	s_wait_alu 0xfffd
	v_cndmask_b32_e64 v15, 0, -1, vcc_lo
	v_cmp_eq_u32_e32 vcc_lo, s21, v10
	s_wait_alu 0xf1ff
	s_delay_alu instid0(VALU_DEP_2)
	v_cndmask_b32_e64 v7, v15, v7, s2
	s_wait_alu 0xfffd
	v_cndmask_b32_e32 v10, v14, v13, vcc_lo
	v_add_co_u32 v13, vcc_lo, v4, 1
	s_wait_alu 0xfffd
	v_add_co_ci_u32_e32 v14, vcc_lo, 0, v9, vcc_lo
	s_delay_alu instid0(VALU_DEP_3) | instskip(SKIP_2) | instid1(VALU_DEP_3)
	v_cmp_ne_u32_e32 vcc_lo, 0, v10
	s_wait_alu 0xfffd
	v_cndmask_b32_e32 v10, v13, v11, vcc_lo
	v_cndmask_b32_e32 v8, v14, v12, vcc_lo
	v_cmp_ne_u32_e32 vcc_lo, 0, v7
	s_wait_alu 0xfffd
	s_delay_alu instid0(VALU_DEP_2)
	v_dual_cndmask_b32 v7, v4, v10 :: v_dual_cndmask_b32 v8, v9, v8
.LBB0_4:                                ;   in Loop: Header=BB0_2 Depth=1
	s_wait_alu 0xfffe
	s_and_not1_saveexec_b32 s2, s22
	s_cbranch_execz .LBB0_6
; %bb.5:                                ;   in Loop: Header=BB0_2 Depth=1
	v_cvt_f32_u32_e32 v4, s20
	s_sub_co_i32 s22, 0, s20
	s_delay_alu instid0(VALU_DEP_1) | instskip(NEXT) | instid1(TRANS32_DEP_1)
	v_rcp_iflag_f32_e32 v4, v4
	v_mul_f32_e32 v4, 0x4f7ffffe, v4
	s_delay_alu instid0(VALU_DEP_1) | instskip(SKIP_1) | instid1(VALU_DEP_1)
	v_cvt_u32_f32_e32 v4, v4
	s_wait_alu 0xfffe
	v_mul_lo_u32 v7, s22, v4
	s_delay_alu instid0(VALU_DEP_1) | instskip(NEXT) | instid1(VALU_DEP_1)
	v_mul_hi_u32 v7, v4, v7
	v_add_nc_u32_e32 v4, v4, v7
	s_delay_alu instid0(VALU_DEP_1) | instskip(NEXT) | instid1(VALU_DEP_1)
	v_mul_hi_u32 v4, v5, v4
	v_mul_lo_u32 v7, v4, s20
	v_add_nc_u32_e32 v8, 1, v4
	s_delay_alu instid0(VALU_DEP_2) | instskip(NEXT) | instid1(VALU_DEP_1)
	v_sub_nc_u32_e32 v7, v5, v7
	v_subrev_nc_u32_e32 v9, s20, v7
	v_cmp_le_u32_e32 vcc_lo, s20, v7
	s_wait_alu 0xfffd
	s_delay_alu instid0(VALU_DEP_2) | instskip(NEXT) | instid1(VALU_DEP_1)
	v_dual_cndmask_b32 v7, v7, v9 :: v_dual_cndmask_b32 v4, v4, v8
	v_cmp_le_u32_e32 vcc_lo, s20, v7
	s_delay_alu instid0(VALU_DEP_2) | instskip(SKIP_1) | instid1(VALU_DEP_1)
	v_add_nc_u32_e32 v8, 1, v4
	s_wait_alu 0xfffd
	v_dual_cndmask_b32 v7, v4, v8 :: v_dual_mov_b32 v8, v3
.LBB0_6:                                ;   in Loop: Header=BB0_2 Depth=1
	s_wait_alu 0xfffe
	s_or_b32 exec_lo, exec_lo, s2
	s_load_b64 s[22:23], s[14:15], 0x0
	s_delay_alu instid0(VALU_DEP_1)
	v_mul_lo_u32 v4, v8, s20
	v_mul_lo_u32 v11, v7, s21
	v_mad_co_u64_u32 v[9:10], null, v7, s20, 0
	s_add_nc_u64 s[16:17], s[16:17], 1
	s_add_nc_u64 s[14:15], s[14:15], 8
	s_wait_alu 0xfffe
	v_cmp_ge_u64_e64 s2, s[16:17], s[6:7]
	s_add_nc_u64 s[18:19], s[18:19], 8
	s_delay_alu instid0(VALU_DEP_2) | instskip(NEXT) | instid1(VALU_DEP_3)
	v_add3_u32 v4, v10, v11, v4
	v_sub_co_u32 v5, vcc_lo, v5, v9
	s_wait_alu 0xfffd
	s_delay_alu instid0(VALU_DEP_2) | instskip(SKIP_3) | instid1(VALU_DEP_2)
	v_sub_co_ci_u32_e32 v4, vcc_lo, v6, v4, vcc_lo
	s_and_b32 vcc_lo, exec_lo, s2
	s_wait_kmcnt 0x0
	v_mul_lo_u32 v6, s23, v5
	v_mul_lo_u32 v4, s22, v4
	v_mad_co_u64_u32 v[1:2], null, s22, v5, v[1:2]
	s_delay_alu instid0(VALU_DEP_1)
	v_add3_u32 v2, v6, v2, v4
	s_wait_alu 0xfffe
	s_cbranch_vccnz .LBB0_9
; %bb.7:                                ;   in Loop: Header=BB0_2 Depth=1
	v_dual_mov_b32 v5, v7 :: v_dual_mov_b32 v6, v8
	s_branch .LBB0_2
.LBB0_8:
	v_dual_mov_b32 v8, v6 :: v_dual_mov_b32 v7, v5
.LBB0_9:
	s_lshl_b64 s[2:3], s[6:7], 3
	v_mul_hi_u32 v3, 0x2302303, v0
	s_wait_alu 0xfffe
	s_add_nc_u64 s[2:3], s[12:13], s[2:3]
                                        ; implicit-def: $vgpr42
                                        ; implicit-def: $vgpr41
                                        ; implicit-def: $vgpr53
                                        ; implicit-def: $vgpr54
                                        ; implicit-def: $vgpr52
                                        ; implicit-def: $vgpr51
                                        ; implicit-def: $vgpr48
                                        ; implicit-def: $vgpr44
                                        ; implicit-def: $vgpr39
                                        ; implicit-def: $vgpr29
                                        ; implicit-def: $vgpr37
                                        ; implicit-def: $vgpr28
                                        ; implicit-def: $vgpr36
                                        ; implicit-def: $vgpr26
                                        ; implicit-def: $vgpr34
                                        ; implicit-def: $vgpr25
                                        ; implicit-def: $vgpr30
                                        ; implicit-def: $vgpr23
                                        ; implicit-def: $vgpr27
                                        ; implicit-def: $vgpr22
                                        ; implicit-def: $vgpr11
                                        ; implicit-def: $vgpr38
                                        ; implicit-def: $vgpr14
                                        ; implicit-def: $vgpr35
                                        ; implicit-def: $vgpr17
                                        ; implicit-def: $vgpr33
                                        ; implicit-def: $vgpr19
                                        ; implicit-def: $vgpr32
                                        ; implicit-def: $vgpr20
                                        ; implicit-def: $vgpr31
                                        ; implicit-def: $vgpr21
                                        ; implicit-def: $vgpr24
                                        ; implicit-def: $vgpr45
                                        ; implicit-def: $vgpr18
                                        ; implicit-def: $vgpr46
                                        ; implicit-def: $vgpr16
                                        ; implicit-def: $vgpr47
                                        ; implicit-def: $vgpr15
                                        ; implicit-def: $vgpr49
                                        ; implicit-def: $vgpr13
                                        ; implicit-def: $vgpr50
                                        ; implicit-def: $vgpr12
                                        ; implicit-def: $vgpr55
                                        ; implicit-def: $vgpr10
	s_load_b64 s[2:3], s[2:3], 0x0
	s_load_b64 s[0:1], s[0:1], 0x20
	v_mov_b32_e32 v43, 0
	s_wait_kmcnt 0x0
	v_mul_lo_u32 v4, s2, v8
	v_mul_lo_u32 v9, s3, v7
	v_mad_co_u64_u32 v[5:6], null, s2, v7, v[1:2]
	v_mul_u32_u24_e32 v1, 0x75, v3
	v_cmp_gt_u64_e32 vcc_lo, s[0:1], v[7:8]
	v_mov_b32_e32 v2, 0
                                        ; implicit-def: $vgpr3
                                        ; implicit-def: $vgpr7
                                        ; implicit-def: $vgpr8
	s_delay_alu instid0(VALU_DEP_4) | instskip(NEXT) | instid1(VALU_DEP_4)
	v_add3_u32 v6, v9, v6, v4
	v_sub_nc_u32_e32 v4, v0, v1
                                        ; implicit-def: $vgpr9
	s_delay_alu instid0(VALU_DEP_2)
	v_lshlrev_b64_e32 v[0:1], 2, v[5:6]
                                        ; implicit-def: $vgpr5
                                        ; implicit-def: $vgpr6
	s_and_saveexec_b32 s1, vcc_lo
	s_cbranch_execz .LBB0_13
; %bb.10:
	s_delay_alu instid0(VALU_DEP_2) | instskip(SKIP_1) | instid1(VALU_DEP_3)
	v_add_nc_u32_e32 v10, 0x87, v4
	v_mad_co_u64_u32 v[2:3], null, s8, v4, 0
	v_add_co_u32 v40, s0, s10, v0
	s_delay_alu instid0(VALU_DEP_3) | instskip(SKIP_2) | instid1(VALU_DEP_4)
	v_mad_co_u64_u32 v[5:6], null, s8, v10, 0
	s_wait_alu 0xf1ff
	v_add_co_ci_u32_e64 v42, s0, s11, v1, s0
	v_mad_co_u64_u32 v[7:8], null, s9, v4, v[3:4]
	v_dual_mov_b32 v43, 0 :: v_dual_add_nc_u32 v12, 0x10e, v4
	s_delay_alu instid0(VALU_DEP_4) | instskip(SKIP_3) | instid1(VALU_DEP_4)
	v_mov_b32_e32 v3, v6
                                        ; implicit-def: $vgpr33
                                        ; implicit-def: $vgpr35
                                        ; implicit-def: $vgpr38
                                        ; implicit-def: $vgpr34
                                        ; implicit-def: $vgpr36
                                        ; implicit-def: $vgpr37
                                        ; implicit-def: $vgpr39
	v_add_nc_u32_e32 v22, 0x3b1, v4
	v_add_nc_u32_e32 v28, 0x4bf, v4
	;; [unrolled: 1-line block ×3, first 2 shown]
	v_mad_co_u64_u32 v[10:11], null, s9, v10, v[3:4]
	v_mov_b32_e32 v3, v7
	v_mad_co_u64_u32 v[8:9], null, s8, v12, 0
	v_add_nc_u32_e32 v16, 0x21c, v4
	v_add_nc_u32_e32 v15, 0x195, v4
	v_mad_co_u64_u32 v[19:20], null, s8, v22, 0
	v_dual_mov_b32 v6, v10 :: v_dual_add_nc_u32 v21, 0x32a, v4
	v_mov_b32_e32 v7, v9
	s_delay_alu instid0(VALU_DEP_4) | instskip(SKIP_1) | instid1(VALU_DEP_4)
	v_mad_co_u64_u32 v[10:11], null, s8, v15, 0
	v_lshlrev_b64_e32 v[2:3], 2, v[2:3]
	v_mad_co_u64_u32 v[17:18], null, s8, v21, 0
	s_delay_alu instid0(VALU_DEP_4)
	v_mad_co_u64_u32 v[12:13], null, s9, v12, v[7:8]
	v_mad_co_u64_u32 v[13:14], null, s8, v16, 0
	v_mov_b32_e32 v7, v11
	v_lshlrev_b64_e32 v[5:6], 2, v[5:6]
	v_add_co_u32 v2, s0, v40, v2
	v_mov_b32_e32 v9, v12
	s_delay_alu instid0(VALU_DEP_4) | instskip(SKIP_1) | instid1(VALU_DEP_3)
	v_mad_co_u64_u32 v[11:12], null, s9, v15, v[7:8]
	v_dual_mov_b32 v7, v14 :: v_dual_add_nc_u32 v12, 0x2a3, v4
	v_lshlrev_b64_e32 v[8:9], 2, v[8:9]
	s_wait_alu 0xf1ff
	v_add_co_ci_u32_e64 v3, s0, v42, v3, s0
	v_add_co_u32 v5, s0, v40, v5
	s_wait_alu 0xf1ff
	v_add_co_ci_u32_e64 v6, s0, v42, v6, s0
	v_mad_co_u64_u32 v[14:15], null, s9, v16, v[7:8]
	v_mad_co_u64_u32 v[15:16], null, s8, v12, 0
	v_add_co_u32 v7, s0, v40, v8
	s_wait_alu 0xf1ff
	v_add_co_ci_u32_e64 v8, s0, v42, v9, s0
	v_lshlrev_b64_e32 v[9:10], 2, v[10:11]
	v_lshlrev_b64_e32 v[13:14], 2, v[13:14]
	v_mov_b32_e32 v11, v16
	v_mad_co_u64_u32 v[23:24], null, s8, v28, 0
	s_delay_alu instid0(VALU_DEP_4) | instskip(NEXT) | instid1(VALU_DEP_3)
	v_add_co_u32 v9, s0, v40, v9
	v_mad_co_u64_u32 v[11:12], null, s9, v12, v[11:12]
	v_mov_b32_e32 v12, v18
	v_mov_b32_e32 v18, v20
	s_wait_alu 0xf1ff
	v_add_co_ci_u32_e64 v10, s0, v42, v10, s0
	s_delay_alu instid0(VALU_DEP_4) | instskip(SKIP_4) | instid1(VALU_DEP_4)
	v_mov_b32_e32 v16, v11
	v_mad_co_u64_u32 v[11:12], null, s9, v21, v[12:13]
	v_mad_co_u64_u32 v[20:21], null, s9, v22, v[18:19]
	v_mad_co_u64_u32 v[21:22], null, s8, v25, 0
	v_add_co_u32 v12, s0, v40, v13
	v_mov_b32_e32 v18, v11
	s_wait_alu 0xf1ff
	v_add_co_ci_u32_e64 v13, s0, v42, v14, s0
	v_lshlrev_b64_e32 v[14:15], 2, v[15:16]
	v_mov_b32_e32 v11, v22
	v_lshlrev_b64_e32 v[16:17], 2, v[17:18]
	v_lshlrev_b64_e32 v[18:19], 2, v[19:20]
	s_delay_alu instid0(VALU_DEP_4) | instskip(SKIP_2) | instid1(VALU_DEP_4)
	v_add_co_u32 v14, s0, v40, v14
	s_wait_alu 0xf1ff
	v_add_co_ci_u32_e64 v15, s0, v42, v15, s0
	v_add_co_u32 v16, s0, v40, v16
	s_wait_alu 0xf1ff
	v_add_co_ci_u32_e64 v17, s0, v42, v17, s0
	;; [unrolled: 3-line block ×3, first 2 shown]
	s_clause 0x7
	global_load_b32 v41, v[2:3], off
	global_load_b32 v3, v[5:6], off
	;; [unrolled: 1-line block ×8, first 2 shown]
	v_mad_co_u64_u32 v[25:26], null, s9, v25, v[11:12]
	s_delay_alu instid0(VALU_DEP_1) | instskip(NEXT) | instid1(VALU_DEP_1)
	v_dual_mov_b32 v22, v25 :: v_dual_add_nc_u32 v29, 0x546, v4
	v_mad_co_u64_u32 v[26:27], null, s8, v29, 0
	s_delay_alu instid0(VALU_DEP_1) | instskip(NEXT) | instid1(VALU_DEP_1)
	v_dual_mov_b32 v11, v24 :: v_dual_mov_b32 v20, v27
	v_mad_co_u64_u32 v[24:25], null, s9, v28, v[11:12]
	v_add_nc_u32_e32 v25, 0x5cd, v4
	v_lshlrev_b64_e32 v[11:12], 2, v[21:22]
	s_delay_alu instid0(VALU_DEP_4) | instskip(NEXT) | instid1(VALU_DEP_3)
	v_mad_co_u64_u32 v[27:28], null, s9, v29, v[20:21]
                                        ; implicit-def: $vgpr21
                                        ; implicit-def: $vgpr22
	v_mad_co_u64_u32 v[28:29], null, s8, v25, 0
	s_delay_alu instid0(VALU_DEP_3) | instskip(SKIP_1) | instid1(VALU_DEP_4)
	v_add_co_u32 v11, s0, v40, v11
	s_wait_alu 0xf1ff
	v_add_co_ci_u32_e64 v12, s0, v42, v12, s0
	s_delay_alu instid0(VALU_DEP_3) | instskip(SKIP_1) | instid1(VALU_DEP_1)
	v_mov_b32_e32 v2, v29
	s_wait_loadcnt 0x6
	v_mad_co_u64_u32 v[13:14], null, s9, v25, v[2:3]
	v_add_nc_u32_e32 v32, 0x654, v4
	v_lshlrev_b64_e32 v[14:15], 2, v[23:24]
                                        ; implicit-def: $vgpr24
                                        ; implicit-def: $vgpr23
                                        ; implicit-def: $vgpr25
	s_delay_alu instid0(VALU_DEP_3) | instskip(NEXT) | instid1(VALU_DEP_3)
	v_mov_b32_e32 v29, v13
	v_mad_co_u64_u32 v[30:31], null, s8, v32, 0
	s_delay_alu instid0(VALU_DEP_3) | instskip(SKIP_1) | instid1(VALU_DEP_4)
	v_add_co_u32 v13, s0, v40, v14
	s_wait_alu 0xf1ff
	v_add_co_ci_u32_e64 v14, s0, v42, v15, s0
	v_lshlrev_b64_e32 v[19:20], 2, v[28:29]
                                        ; implicit-def: $vgpr28
                                        ; implicit-def: $vgpr29
	s_delay_alu instid0(VALU_DEP_4) | instskip(NEXT) | instid1(VALU_DEP_1)
	v_mov_b32_e32 v2, v31
	v_mad_co_u64_u32 v[16:17], null, s9, v32, v[2:3]
	v_lshlrev_b64_e32 v[17:18], 2, v[26:27]
	v_mov_b32_e32 v2, 0
                                        ; implicit-def: $vgpr32
                                        ; implicit-def: $vgpr27
                                        ; implicit-def: $vgpr26
	s_delay_alu instid0(VALU_DEP_3) | instskip(NEXT) | instid1(VALU_DEP_3)
	v_mov_b32_e32 v31, v16
	v_add_co_u32 v15, s0, v40, v17
	s_wait_alu 0xf1ff
	s_delay_alu instid0(VALU_DEP_4) | instskip(NEXT) | instid1(VALU_DEP_3)
	v_add_co_ci_u32_e64 v16, s0, v42, v18, s0
	v_lshlrev_b64_e32 v[17:18], 2, v[30:31]
	v_add_co_u32 v19, s0, v40, v19
	s_wait_alu 0xf1ff
	v_add_co_ci_u32_e64 v20, s0, v42, v20, s0
                                        ; implicit-def: $vgpr31
                                        ; implicit-def: $vgpr30
	s_delay_alu instid0(VALU_DEP_3)
	v_add_co_u32 v17, s0, v40, v17
	s_wait_alu 0xf1ff
	v_add_co_ci_u32_e64 v18, s0, v42, v18, s0
	s_clause 0x4
	global_load_b32 v12, v[11:12], off
	global_load_b32 v13, v[13:14], off
	;; [unrolled: 1-line block ×5, first 2 shown]
	v_cmp_gt_u32_e64 s0, 18, v4
                                        ; implicit-def: $vgpr20
                                        ; implicit-def: $vgpr19
                                        ; implicit-def: $vgpr17
                                        ; implicit-def: $vgpr14
                                        ; implicit-def: $vgpr11
	s_delay_alu instid0(VALU_DEP_1)
	s_and_saveexec_b32 s2, s0
	s_cbranch_execz .LBB0_12
; %bb.11:
	v_add_nc_u32_e32 v17, 0xfc, v4
	v_add_nc_u32_e32 v30, 0x183, v4
	;; [unrolled: 1-line block ×4, first 2 shown]
	s_delay_alu instid0(VALU_DEP_4) | instskip(SKIP_3) | instid1(VALU_DEP_4)
	v_mad_co_u64_u32 v[21:22], null, s8, v17, 0
	v_add_nc_u32_e32 v14, 0x75, v4
	v_mad_co_u64_u32 v[23:24], null, s8, v30, 0
	v_mad_co_u64_u32 v[34:35], null, s8, v38, 0
	v_dual_mov_b32 v11, v22 :: v_dual_add_nc_u32 v32, 0x20a, v4
	s_delay_alu instid0(VALU_DEP_4) | instskip(SKIP_1) | instid1(VALU_DEP_2)
	v_mad_co_u64_u32 v[19:20], null, s8, v14, 0
	v_mad_co_u64_u32 v[51:52], null, s8, v53, 0
	v_mov_b32_e32 v2, v20
	s_wait_loadcnt 0x4
	v_mad_co_u64_u32 v[28:29], null, s9, v17, v[11:12]
	v_add_nc_u32_e32 v11, 0x291, v4
	v_add_nc_u32_e32 v17, 0x39f, v4
	v_mad_co_u64_u32 v[25:26], null, s9, v14, v[2:3]
	v_mov_b32_e32 v2, v24
	v_mad_co_u64_u32 v[26:27], null, s8, v32, 0
	v_add_nc_u32_e32 v14, 0x318, v4
	v_mov_b32_e32 v22, v28
	s_delay_alu instid0(VALU_DEP_4) | instskip(SKIP_3) | instid1(VALU_DEP_4)
	v_mad_co_u64_u32 v[29:30], null, s9, v30, v[2:3]
	v_mad_co_u64_u32 v[30:31], null, s8, v11, 0
	v_mov_b32_e32 v2, v27
	v_mov_b32_e32 v20, v25
	;; [unrolled: 1-line block ×3, first 2 shown]
	s_delay_alu instid0(VALU_DEP_3) | instskip(SKIP_3) | instid1(VALU_DEP_3)
	v_mad_co_u64_u32 v[27:28], null, s9, v32, v[2:3]
	v_mov_b32_e32 v2, v31
	v_mad_co_u64_u32 v[32:33], null, s8, v14, 0
	v_lshlrev_b64_e32 v[19:20], 2, v[19:20]
	v_mad_co_u64_u32 v[28:29], null, s9, v11, v[2:3]
	v_lshlrev_b64_e32 v[25:26], 2, v[26:27]
	s_delay_alu instid0(VALU_DEP_4) | instskip(NEXT) | instid1(VALU_DEP_4)
	v_dual_mov_b32 v11, v35 :: v_dual_mov_b32 v2, v33
	v_add_co_u32 v19, s0, v40, v19
	s_wait_alu 0xf1ff
	v_add_co_ci_u32_e64 v20, s0, v42, v20, s0
	v_mov_b32_e32 v31, v28
	v_mad_co_u64_u32 v[27:28], null, s8, v17, 0
	v_mad_co_u64_u32 v[36:37], null, s9, v14, v[2:3]
	v_add_nc_u32_e32 v14, 0x534, v4
	s_delay_alu instid0(VALU_DEP_3) | instskip(SKIP_1) | instid1(VALU_DEP_4)
	v_mov_b32_e32 v2, v28
	v_lshlrev_b64_e32 v[28:29], 2, v[30:31]
	v_mov_b32_e32 v33, v36
	v_mad_co_u64_u32 v[35:36], null, s9, v38, v[11:12]
	v_add_nc_u32_e32 v11, 0x4ad, v4
	v_lshlrev_b64_e32 v[21:22], 2, v[21:22]
	v_mad_co_u64_u32 v[30:31], null, s9, v17, v[2:3]
	v_add_nc_u32_e32 v17, 0x5bb, v4
	v_lshlrev_b64_e32 v[23:24], 2, v[23:24]
	v_mad_co_u64_u32 v[38:39], null, s8, v11, 0
	v_add_co_u32 v21, s0, v40, v21
	s_wait_alu 0xf1ff
	v_add_co_ci_u32_e64 v22, s0, v42, v22, s0
	s_delay_alu instid0(VALU_DEP_4)
	v_add_co_u32 v23, s0, v40, v23
	s_wait_alu 0xf1ff
	v_add_co_ci_u32_e64 v24, s0, v42, v24, s0
	v_add_co_u32 v25, s0, v40, v25
	v_lshlrev_b64_e32 v[31:32], 2, v[32:33]
	s_wait_alu 0xf1ff
	v_add_co_ci_u32_e64 v26, s0, v42, v26, s0
	v_add_co_u32 v36, s0, v40, v28
	s_wait_alu 0xf1ff
	v_add_co_ci_u32_e64 v37, s0, v42, v29, s0
	v_mov_b32_e32 v28, v30
	v_add_co_u32 v30, s0, v40, v31
	v_mov_b32_e32 v2, v39
	s_wait_alu 0xf1ff
	v_add_co_ci_u32_e64 v31, s0, v42, v32, s0
	v_lshlrev_b64_e32 v[32:33], 2, v[34:35]
	v_mad_co_u64_u32 v[34:35], null, s8, v14, 0
	v_mad_co_u64_u32 v[43:44], null, s9, v11, v[2:3]
	;; [unrolled: 1-line block ×3, first 2 shown]
	v_lshlrev_b64_e32 v[27:28], 2, v[27:28]
	s_delay_alu instid0(VALU_DEP_3) | instskip(NEXT) | instid1(VALU_DEP_2)
	v_dual_mov_b32 v2, v35 :: v_dual_mov_b32 v39, v43
	v_add_co_u32 v46, s0, v40, v27
	s_delay_alu instid0(VALU_DEP_4) | instskip(SKIP_1) | instid1(VALU_DEP_4)
	v_mov_b32_e32 v11, v45
	s_wait_alu 0xf1ff
	v_add_co_ci_u32_e64 v47, s0, v42, v28, s0
	v_mad_co_u64_u32 v[27:28], null, s9, v14, v[2:3]
	v_add_nc_u32_e32 v14, 0x642, v4
	v_mad_co_u64_u32 v[48:49], null, s9, v17, v[11:12]
	v_add_co_u32 v32, s0, v40, v32
	s_delay_alu instid0(VALU_DEP_3) | instskip(SKIP_2) | instid1(VALU_DEP_4)
	v_mad_co_u64_u32 v[49:50], null, s8, v14, 0
	s_wait_alu 0xf1ff
	v_add_co_ci_u32_e64 v33, s0, v42, v33, s0
	v_mov_b32_e32 v45, v48
	s_clause 0x7
	global_load_b32 v43, v[19:20], off
	global_load_b32 v29, v[21:22], off
	;; [unrolled: 1-line block ×8, first 2 shown]
	v_mov_b32_e32 v35, v27
	v_lshlrev_b64_e32 v[19:20], 2, v[38:39]
	v_mov_b32_e32 v2, v50
	s_delay_alu instid0(VALU_DEP_1)
	v_mad_co_u64_u32 v[30:31], null, s9, v14, v[2:3]
	v_mov_b32_e32 v2, v52
	v_lshlrev_b64_e32 v[31:32], 2, v[34:35]
	v_add_co_u32 v19, s0, v40, v19
	s_wait_alu 0xf1ff
	v_add_co_ci_u32_e64 v20, s0, v42, v20, s0
	v_mad_co_u64_u32 v[33:34], null, s9, v53, v[2:3]
	v_mov_b32_e32 v50, v30
	v_lshlrev_b64_e32 v[34:35], 2, v[44:45]
	v_add_co_u32 v36, s0, v40, v31
	s_wait_alu 0xf1ff
	v_add_co_ci_u32_e64 v37, s0, v42, v32, s0
	v_mov_b32_e32 v52, v33
	v_lshlrev_b64_e32 v[30:31], 2, v[49:50]
	v_add_co_u32 v33, s0, v40, v34
	s_wait_alu 0xf1ff
	v_add_co_ci_u32_e64 v34, s0, v42, v35, s0
	v_lshlrev_b64_e32 v[38:39], 2, v[51:52]
	s_delay_alu instid0(VALU_DEP_4) | instskip(SKIP_2) | instid1(VALU_DEP_3)
	v_add_co_u32 v44, s0, v40, v30
	s_wait_alu 0xf1ff
	v_add_co_ci_u32_e64 v45, s0, v42, v31, s0
	v_add_co_u32 v38, s0, v40, v38
	s_wait_alu 0xf1ff
	v_add_co_ci_u32_e64 v39, s0, v42, v39, s0
	s_clause 0x4
	global_load_b32 v31, v[19:20], off
	global_load_b32 v32, v[36:37], off
	global_load_b32 v33, v[33:34], off
	global_load_b32 v35, v[44:45], off
	global_load_b32 v38, v[38:39], off
	s_wait_loadcnt 0xc
	v_lshrrev_b32_e32 v2, 16, v43
	s_wait_loadcnt 0xb
	v_lshrrev_b32_e32 v39, 16, v29
	;; [unrolled: 2-line block ×13, first 2 shown]
.LBB0_12:
	s_wait_alu 0xfffe
	s_or_b32 exec_lo, exec_lo, s2
	v_lshrrev_b32_e32 v42, 16, v41
	v_lshrrev_b32_e32 v53, 16, v3
	s_wait_loadcnt 0xa
	v_lshrrev_b32_e32 v54, 16, v5
	s_wait_loadcnt 0x9
	v_lshrrev_b32_e32 v52, 16, v6
	s_wait_loadcnt 0x8
	v_lshrrev_b32_e32 v51, 16, v7
	s_wait_loadcnt 0x7
	v_lshrrev_b32_e32 v48, 16, v8
	s_wait_loadcnt 0x6
	v_lshrrev_b32_e32 v44, 16, v9
	s_wait_loadcnt 0x5
	v_lshrrev_b32_e32 v55, 16, v10
	s_wait_loadcnt 0x4
	v_lshrrev_b32_e32 v50, 16, v12
	s_wait_loadcnt 0x3
	v_lshrrev_b32_e32 v49, 16, v13
	s_wait_loadcnt 0x2
	v_lshrrev_b32_e32 v47, 16, v15
	s_wait_loadcnt 0x1
	v_lshrrev_b32_e32 v46, 16, v16
	s_wait_loadcnt 0x0
	v_lshrrev_b32_e32 v45, 16, v18
.LBB0_13:
	s_wait_alu 0xfffe
	s_or_b32 exec_lo, exec_lo, s1
	s_delay_alu instid0(VALU_DEP_1)
	v_sub_f16_e32 v56, v53, v45
	v_add_f16_e32 v40, v41, v3
	v_add_f16_e32 v57, v18, v3
	v_sub_f16_e32 v59, v54, v46
	v_add_f16_e32 v58, v16, v5
	v_pk_mul_f16 v69, 0xba95b770, v56 op_sel_hi:[1,0]
	v_add_f16_e32 v40, v40, v5
	v_sub_f16_e32 v61, v52, v47
	v_pk_mul_f16 v70, 0xbb7bba95, v59 op_sel_hi:[1,0]
	v_add_f16_e32 v60, v15, v6
	v_pk_fma_f16 v79, 0x388b3b15, v57, v69 op_sel_hi:[1,0,1]
	v_add_f16_e32 v40, v40, v6
	v_sub_f16_e32 v63, v51, v49
	v_pk_mul_f16 v71, 0xb3a8bbf1, v61 op_sel_hi:[1,0]
	v_pk_mul_f16 v75, 0xbb7bbbf1, v56 op_sel_hi:[1,0]
	v_pk_mul_f16 v80, 0xb3a8b94e, v56 op_sel_hi:[1,0]
	v_pk_fma_f16 v56, 0xb5ac388b, v58, v70 op_sel_hi:[1,0,1]
	v_pk_add_f16 v79, v79, v41 op_sel_hi:[1,0]
	v_add_f16_e32 v68, v40, v7
	v_add_f16_e32 v62, v13, v7
	v_pk_mul_f16 v72, 0x394ebb7b, v63 op_sel_hi:[1,0]
	v_pk_fma_f16 v81, 0xbbc42fb7, v60, v71 op_sel_hi:[1,0,1]
	v_pk_add_f16 v56, v79, v56
	v_pk_mul_f16 v76, 0x394eb3a8, v59 op_sel_hi:[1,0]
	v_pk_fma_f16 v84, 0xb5ac2fb7, v57, v75 op_sel_hi:[1,0,1]
	v_add_f16_e32 v68, v68, v8
	v_sub_f16_e32 v65, v48, v50
	v_pk_mul_f16 v59, 0x37703bf1, v59 op_sel_hi:[1,0]
	v_pk_fma_f16 v82, 0xb9fdb5ac, v62, v72 op_sel_hi:[1,0,1]
	v_pk_add_f16 v56, v56, v81
	v_pk_fma_f16 v86, 0xbbc4b9fd, v57, v80 op_sel_hi:[1,0,1]
	v_pk_fma_f16 v80, 0xbbc4b9fd, v57, v80 op_sel_hi:[1,0,1] neg_lo:[0,0,1] neg_hi:[0,0,1]
	v_pk_fma_f16 v85, 0xb9fdbbc4, v58, v76 op_sel_hi:[1,0,1]
	v_pk_add_f16 v84, v84, v41 op_sel_hi:[1,0]
	v_pk_fma_f16 v75, 0xb5ac2fb7, v57, v75 op_sel_hi:[1,0,1] neg_lo:[0,0,1] neg_hi:[0,0,1]
	v_pk_fma_f16 v57, 0x388b3b15, v57, v69 op_sel_hi:[1,0,1] neg_lo:[0,0,1] neg_hi:[0,0,1]
	v_add_f16_e32 v68, v68, v9
	v_add_f16_e32 v64, v12, v8
	v_pk_mul_f16 v73, 0x3bf1b94e, v65 op_sel_hi:[1,0]
	v_pk_mul_f16 v77, 0x37703b7b, v61 op_sel_hi:[1,0]
	v_pk_add_f16 v56, v56, v82
	v_pk_fma_f16 v82, 0x3b152fb7, v58, v59 op_sel_hi:[1,0,1]
	v_pk_mul_f16 v61, 0xb94eba95, v61 op_sel_hi:[1,0]
	v_pk_add_f16 v69, v80, v41 op_sel_hi:[1,0]
	v_pk_fma_f16 v59, 0x3b152fb7, v58, v59 op_sel_hi:[1,0,1] neg_lo:[0,0,1] neg_hi:[0,0,1]
	v_pk_add_f16 v84, v84, v85
	v_pk_add_f16 v85, v86, v41 op_sel_hi:[1,0]
	v_pk_add_f16 v75, v75, v41 op_sel_hi:[1,0]
	v_pk_fma_f16 v76, 0xb9fdbbc4, v58, v76 op_sel_hi:[1,0,1] neg_lo:[0,0,1] neg_hi:[0,0,1]
	v_pk_add_f16 v41, v57, v41 op_sel_hi:[1,0]
	v_pk_fma_f16 v57, 0xb5ac388b, v58, v70 op_sel_hi:[1,0,1] neg_lo:[0,0,1] neg_hi:[0,0,1]
	v_add_f16_e32 v68, v68, v10
	v_sub_f16_e32 v67, v44, v55
	v_pk_mul_f16 v78, 0xbbf13770, v63 op_sel_hi:[1,0]
	v_pk_fma_f16 v83, 0x2fb7b9fd, v64, v73 op_sel_hi:[1,0,1]
	v_pk_fma_f16 v81, 0x3b15b5ac, v60, v77 op_sel_hi:[1,0,1]
	v_pk_mul_f16 v63, 0x3a9533a8, v63 op_sel_hi:[1,0]
	v_pk_add_f16 v58, v69, v59
	v_pk_fma_f16 v59, 0xb9fd388b, v60, v61 op_sel_hi:[1,0,1] neg_lo:[0,0,1] neg_hi:[0,0,1]
	v_pk_add_f16 v82, v85, v82
	v_pk_fma_f16 v85, 0xb9fd388b, v60, v61 op_sel_hi:[1,0,1]
	v_pk_add_f16 v61, v75, v76
	v_pk_fma_f16 v69, 0x3b15b5ac, v60, v77 op_sel_hi:[1,0,1] neg_lo:[0,0,1] neg_hi:[0,0,1]
	v_pk_add_f16 v41, v41, v57
	v_pk_fma_f16 v57, 0xbbc42fb7, v60, v71 op_sel_hi:[1,0,1] neg_lo:[0,0,1] neg_hi:[0,0,1]
	v_add_f16_e32 v68, v12, v68
	v_add_f16_e32 v66, v10, v9
	v_pk_mul_f16 v74, 0x3770b3a8, v67 op_sel_hi:[1,0]
	v_pk_add_f16 v56, v56, v83
	v_pk_add_f16 v81, v84, v81
	v_pk_fma_f16 v83, 0x2fb73b15, v62, v78 op_sel_hi:[1,0,1]
	v_pk_mul_f16 v84, 0x33a8ba95, v65 op_sel_hi:[1,0]
	v_pk_mul_f16 v65, 0xbb7b3770, v65 op_sel_hi:[1,0]
	v_pk_add_f16 v58, v58, v59
	v_pk_fma_f16 v59, 0x388bbbc4, v62, v63 op_sel_hi:[1,0,1] neg_lo:[0,0,1] neg_hi:[0,0,1]
	v_pk_add_f16 v60, v61, v69
	v_pk_fma_f16 v61, 0x2fb73b15, v62, v78 op_sel_hi:[1,0,1] neg_lo:[0,0,1] neg_hi:[0,0,1]
	v_pk_add_f16 v41, v41, v57
	v_pk_fma_f16 v57, 0xb9fdb5ac, v62, v72 op_sel_hi:[1,0,1] neg_lo:[0,0,1] neg_hi:[0,0,1]
	v_add_f16_e32 v68, v13, v68
	v_pk_fma_f16 v79, 0x3b15bbc4, v66, v74 op_sel_hi:[1,0,1]
	v_pk_add_f16 v81, v81, v83
	v_pk_fma_f16 v83, 0xbbc4388b, v64, v84 op_sel_hi:[1,0,1]
	v_pk_mul_f16 v86, 0x3a95b94e, v67 op_sel_hi:[1,0]
	v_pk_add_f16 v82, v82, v85
	v_pk_fma_f16 v85, 0x388bbbc4, v62, v63 op_sel_hi:[1,0,1]
	v_pk_mul_f16 v67, 0x3bf1bb7b, v67 op_sel_hi:[1,0]
	v_pk_add_f16 v58, v58, v59
	v_pk_fma_f16 v59, 0xb5ac3b15, v64, v65 op_sel_hi:[1,0,1] neg_lo:[0,0,1] neg_hi:[0,0,1]
	v_pk_add_f16 v60, v60, v61
	v_pk_fma_f16 v61, 0xbbc4388b, v64, v84 op_sel_hi:[1,0,1] neg_lo:[0,0,1] neg_hi:[0,0,1]
	;; [unrolled: 2-line block ×3, first 2 shown]
	v_add_f16_e32 v68, v15, v68
	v_pk_add_f16 v56, v56, v79
	v_pk_add_f16 v79, v81, v83
	v_pk_add_f16 v82, v82, v85
	v_pk_fma_f16 v83, 0xb5ac3b15, v64, v65 op_sel_hi:[1,0,1]
	v_pk_add_f16 v58, v58, v59
	v_pk_fma_f16 v59, 0x2fb7b5ac, v66, v67 op_sel_hi:[1,0,1] neg_lo:[0,0,1] neg_hi:[0,0,1]
	v_pk_add_f16 v60, v60, v61
	v_pk_fma_f16 v61, 0x388bb9fd, v66, v86 op_sel_hi:[1,0,1] neg_lo:[0,0,1] neg_hi:[0,0,1]
	;; [unrolled: 2-line block ×3, first 2 shown]
	v_add_f16_e32 v68, v16, v68
	v_pk_fma_f16 v81, 0x388bb9fd, v66, v86 op_sel_hi:[1,0,1]
	v_pk_add_f16 v62, v82, v83
	v_pk_fma_f16 v63, 0x2fb7b5ac, v66, v67 op_sel_hi:[1,0,1]
	v_pk_add_f16 v59, v58, v59
	v_pk_add_f16 v60, v60, v61
	;; [unrolled: 1-line block ×3, first 2 shown]
	v_mad_u32_u24 v40, v4, 26, 0
	v_add_f16_e32 v68, v18, v68
	v_cmp_gt_u32_e64 s0, 18, v4
	v_pk_add_f16 v57, v79, v81
	v_pk_add_f16 v58, v62, v63
	v_alignbit_b32 v59, v59, v59, 16
	v_alignbit_b32 v60, v60, v60, 16
	;; [unrolled: 1-line block ×3, first 2 shown]
	ds_store_b16 v40, v68
	ds_store_b128 v40, v[56:59] offset:2
	ds_store_b64 v40, v[60:61] offset:18
	s_and_saveexec_b32 s1, s0
	s_cbranch_execz .LBB0_15
; %bb.14:
	v_sub_f16_e32 v56, v39, v11
	v_add_f16_e32 v57, v29, v38
	v_sub_f16_e32 v59, v37, v14
	v_add_f16_e32 v41, v43, v29
	v_add_f16_e32 v58, v28, v35
	v_pk_mul_f16 v68, 0xba95b770, v56 op_sel_hi:[1,0]
	v_sub_f16_e32 v61, v36, v17
	v_pk_mul_f16 v69, 0xbb7bba95, v59 op_sel_hi:[1,0]
	v_add_f16_e32 v41, v41, v28
	v_add_f16_e32 v60, v26, v33
	v_pk_fma_f16 v79, 0x388b3b15, v57, v68 op_sel_hi:[1,0,1]
	v_sub_f16_e32 v63, v34, v19
	v_pk_mul_f16 v70, 0xb3a8bbf1, v61 op_sel_hi:[1,0]
	v_pk_mul_f16 v74, 0xbb7bbbf1, v56 op_sel_hi:[1,0]
	;; [unrolled: 1-line block ×3, first 2 shown]
	v_pk_fma_f16 v56, 0xb5ac388b, v58, v69 op_sel_hi:[1,0,1]
	v_pk_add_f16 v79, v43, v79 op_sel_hi:[0,1]
	v_add_f16_e32 v41, v41, v26
	v_add_f16_e32 v62, v25, v32
	v_sub_f16_e32 v65, v30, v20
	v_pk_mul_f16 v71, 0x394ebb7b, v63 op_sel_hi:[1,0]
	v_pk_fma_f16 v81, 0xbbc42fb7, v60, v70 op_sel_hi:[1,0,1]
	v_pk_add_f16 v56, v79, v56
	v_add_f16_e32 v41, v41, v25
	v_add_f16_e32 v64, v23, v31
	v_pk_mul_f16 v72, 0x3bf1b94e, v65 op_sel_hi:[1,0]
	v_pk_mul_f16 v75, 0x394eb3a8, v59 op_sel_hi:[1,0]
	v_pk_fma_f16 v82, 0xb9fdb5ac, v62, v71 op_sel_hi:[1,0,1]
	v_pk_fma_f16 v83, 0xb5ac2fb7, v57, v74 op_sel_hi:[1,0,1]
	v_pk_add_f16 v56, v56, v81
	v_add_f16_e32 v41, v41, v23
	v_pk_mul_f16 v76, 0x37703b7b, v61 op_sel_hi:[1,0]
	v_pk_mul_f16 v59, 0x37703bf1, v59 op_sel_hi:[1,0]
	v_pk_fma_f16 v79, 0x2fb7b9fd, v64, v72 op_sel_hi:[1,0,1]
	v_pk_fma_f16 v84, 0xb9fdbbc4, v58, v75 op_sel_hi:[1,0,1]
	v_pk_add_f16 v83, v43, v83 op_sel_hi:[0,1]
	v_pk_fma_f16 v85, 0xbbc4b9fd, v57, v80 op_sel_hi:[1,0,1]
	v_pk_add_f16 v56, v56, v82
	v_pk_fma_f16 v80, 0xbbc4b9fd, v57, v80 op_sel_hi:[1,0,1] neg_lo:[0,0,1] neg_hi:[0,0,1]
	v_pk_fma_f16 v74, 0xb5ac2fb7, v57, v74 op_sel_hi:[1,0,1] neg_lo:[0,0,1] neg_hi:[0,0,1]
	;; [unrolled: 1-line block ×3, first 2 shown]
	v_add_f16_e32 v41, v41, v22
	v_pk_mul_f16 v77, 0xbbf13770, v63 op_sel_hi:[1,0]
	v_pk_fma_f16 v81, 0x3b15b5ac, v60, v76 op_sel_hi:[1,0,1]
	v_pk_add_f16 v83, v83, v84
	v_pk_add_f16 v56, v56, v79
	v_pk_fma_f16 v79, 0x3b152fb7, v58, v59 op_sel_hi:[1,0,1]
	v_pk_mul_f16 v61, 0xb94eba95, v61 op_sel_hi:[1,0]
	v_pk_add_f16 v68, v43, v80 op_sel_hi:[0,1]
	v_pk_fma_f16 v59, 0x3b152fb7, v58, v59 op_sel_hi:[1,0,1] neg_lo:[0,0,1] neg_hi:[0,0,1]
	v_pk_add_f16 v84, v43, v85 op_sel_hi:[0,1]
	v_pk_add_f16 v74, v43, v74 op_sel_hi:[0,1]
	v_pk_fma_f16 v75, 0xb9fdbbc4, v58, v75 op_sel_hi:[1,0,1] neg_lo:[0,0,1] neg_hi:[0,0,1]
	v_pk_add_f16 v43, v43, v57 op_sel_hi:[0,1]
	v_pk_fma_f16 v57, 0xb5ac388b, v58, v69 op_sel_hi:[1,0,1] neg_lo:[0,0,1] neg_hi:[0,0,1]
	v_add_f16_e32 v41, v41, v24
	v_pk_mul_f16 v78, 0x33a8ba95, v65 op_sel_hi:[1,0]
	v_pk_fma_f16 v82, 0x2fb73b15, v62, v77 op_sel_hi:[1,0,1]
	v_pk_add_f16 v81, v83, v81
	v_pk_mul_f16 v63, 0x3a9533a8, v63 op_sel_hi:[1,0]
	v_pk_add_f16 v58, v68, v59
	v_pk_fma_f16 v59, 0xb9fd388b, v60, v61 op_sel_hi:[1,0,1] neg_lo:[0,0,1] neg_hi:[0,0,1]
	v_pk_add_f16 v79, v84, v79
	v_pk_fma_f16 v84, 0xb9fd388b, v60, v61 op_sel_hi:[1,0,1]
	v_pk_add_f16 v61, v74, v75
	v_pk_fma_f16 v68, 0x3b15b5ac, v60, v76 op_sel_hi:[1,0,1] neg_lo:[0,0,1] neg_hi:[0,0,1]
	v_pk_add_f16 v43, v43, v57
	v_pk_fma_f16 v57, 0xbbc42fb7, v60, v70 op_sel_hi:[1,0,1] neg_lo:[0,0,1] neg_hi:[0,0,1]
	v_add_f16_e32 v41, v31, v41
	v_sub_f16_e32 v67, v27, v21
	v_pk_add_f16 v81, v81, v82
	v_pk_fma_f16 v82, 0xbbc4388b, v64, v78 op_sel_hi:[1,0,1]
	v_pk_mul_f16 v65, 0xbb7b3770, v65 op_sel_hi:[1,0]
	v_pk_add_f16 v58, v58, v59
	v_pk_fma_f16 v59, 0x388bbbc4, v62, v63 op_sel_hi:[1,0,1] neg_lo:[0,0,1] neg_hi:[0,0,1]
	v_pk_add_f16 v60, v61, v68
	v_pk_fma_f16 v61, 0x2fb73b15, v62, v77 op_sel_hi:[1,0,1] neg_lo:[0,0,1] neg_hi:[0,0,1]
	;; [unrolled: 2-line block ×3, first 2 shown]
	v_add_f16_e32 v41, v32, v41
	v_add_f16_e32 v66, v22, v24
	v_pk_mul_f16 v73, 0x3770b3a8, v67 op_sel_hi:[1,0]
	v_pk_mul_f16 v85, 0x3a95b94e, v67 op_sel_hi:[1,0]
	v_pk_add_f16 v81, v81, v82
	v_pk_add_f16 v79, v79, v84
	v_pk_fma_f16 v82, 0x388bbbc4, v62, v63 op_sel_hi:[1,0,1]
	v_pk_mul_f16 v67, 0x3bf1bb7b, v67 op_sel_hi:[1,0]
	v_pk_add_f16 v58, v58, v59
	v_pk_fma_f16 v59, 0xb5ac3b15, v64, v65 op_sel_hi:[1,0,1] neg_lo:[0,0,1] neg_hi:[0,0,1]
	v_pk_add_f16 v60, v60, v61
	v_pk_fma_f16 v61, 0xbbc4388b, v64, v78 op_sel_hi:[1,0,1] neg_lo:[0,0,1] neg_hi:[0,0,1]
	;; [unrolled: 2-line block ×3, first 2 shown]
	v_add_f16_e32 v41, v33, v41
	v_pk_fma_f16 v83, 0x3b15bbc4, v66, v73 op_sel_hi:[1,0,1]
	v_pk_add_f16 v79, v79, v82
	v_pk_fma_f16 v82, 0xb5ac3b15, v64, v65 op_sel_hi:[1,0,1]
	v_pk_add_f16 v58, v58, v59
	v_pk_fma_f16 v59, 0x2fb7b5ac, v66, v67 op_sel_hi:[1,0,1] neg_lo:[0,0,1] neg_hi:[0,0,1]
	v_pk_add_f16 v60, v60, v61
	v_pk_fma_f16 v61, 0x388bb9fd, v66, v85 op_sel_hi:[1,0,1] neg_lo:[0,0,1] neg_hi:[0,0,1]
	;; [unrolled: 2-line block ×3, first 2 shown]
	v_add_f16_e32 v41, v35, v41
	v_pk_add_f16 v56, v56, v83
	v_pk_fma_f16 v83, 0x388bb9fd, v66, v85 op_sel_hi:[1,0,1]
	v_pk_add_f16 v62, v79, v82
	v_pk_fma_f16 v63, 0x2fb7b5ac, v66, v67 op_sel_hi:[1,0,1]
	v_pk_add_f16 v59, v58, v59
	v_pk_add_f16 v60, v60, v61
	;; [unrolled: 1-line block ×3, first 2 shown]
	v_add_f16_e32 v41, v38, v41
	v_pk_add_f16 v57, v81, v83
	v_pk_add_f16 v58, v62, v63
	v_alignbit_b32 v59, v59, v59, 16
	v_alignbit_b32 v60, v60, v60, 16
	v_alignbit_b32 v61, v43, v43, 16
	ds_store_b16 v40, v41 offset:3042
	ds_store_b128 v40, v[56:59] offset:3044
	ds_store_b64 v40, v[60:61] offset:3060
.LBB0_15:
	s_wait_alu 0xfffe
	s_or_b32 exec_lo, exec_lo, s1
	v_add_f16_e32 v41, v42, v53
	v_sub_f16_e32 v5, v5, v16
	v_sub_f16_e32 v7, v7, v13
	;; [unrolled: 1-line block ×4, first 2 shown]
	v_add_f16_e32 v16, v41, v54
	v_add_f16_e32 v43, v45, v53
	v_sub_f16_e32 v8, v8, v12
	v_add_f16_e32 v18, v46, v54
	v_pk_mul_f16 v12, 0xba95b770, v3 op_sel_hi:[1,0]
	v_add_f16_e32 v13, v16, v52
	v_sub_f16_e32 v6, v6, v15
	v_add_f16_e32 v41, v47, v52
	v_add_f16_e32 v15, v49, v51
	v_pk_fma_f16 v58, 0x388b3b15, v43, v12 op_sel_hi:[1,0,1] neg_lo:[0,0,1] neg_hi:[0,0,1]
	v_add_f16_e32 v10, v13, v51
	v_pk_mul_f16 v13, 0xbb7bba95, v5 op_sel_hi:[1,0]
	v_pk_mul_f16 v51, 0xb3a8bbf1, v6 op_sel_hi:[1,0]
	;; [unrolled: 1-line block ×4, first 2 shown]
	v_add_f16_e32 v10, v10, v48
	v_pk_fma_f16 v59, 0xb5ac388b, v18, v13 op_sel_hi:[1,0,1] neg_lo:[0,0,1] neg_hi:[0,0,1]
	v_pk_add_f16 v58, v58, v42 op_sel_hi:[1,0]
	v_pk_fma_f16 v12, 0x388b3b15, v43, v12 op_sel_hi:[1,0,1]
	v_add_f16_e32 v16, v50, v48
	v_add_f16_e32 v10, v10, v44
	;; [unrolled: 1-line block ×3, first 2 shown]
	v_pk_mul_f16 v57, 0x394eb3a8, v5 op_sel_hi:[1,0]
	v_pk_fma_f16 v60, 0xbbc42fb7, v41, v51 op_sel_hi:[1,0,1] neg_lo:[0,0,1] neg_hi:[0,0,1]
	v_pk_fma_f16 v13, 0xb5ac388b, v18, v13 op_sel_hi:[1,0,1]
	v_add_f16_e32 v10, v10, v55
	v_pk_fma_f16 v55, 0xb9fdb5ac, v15, v53 op_sel_hi:[1,0,1] neg_lo:[0,0,1] neg_hi:[0,0,1]
	v_pk_add_f16 v12, v12, v42 op_sel_hi:[1,0]
	v_pk_mul_f16 v48, 0x3bf1b94e, v8 op_sel_hi:[1,0]
	v_pk_mul_f16 v44, 0x37703b7b, v6 op_sel_hi:[1,0]
	v_add_f16_e32 v10, v50, v10
	v_pk_fma_f16 v50, 0xbbc42fb7, v41, v51 op_sel_hi:[1,0,1]
	v_pk_add_f16 v51, v58, v59
	v_pk_add_f16 v12, v12, v13
	v_pk_fma_f16 v61, 0x2fb7b9fd, v16, v48 op_sel_hi:[1,0,1] neg_lo:[0,0,1] neg_hi:[0,0,1]
	v_add_f16_e32 v10, v49, v10
	v_pk_fma_f16 v49, 0xb9fdb5ac, v15, v53 op_sel_hi:[1,0,1]
	v_pk_fma_f16 v53, 0xb5ac2fb7, v43, v56 op_sel_hi:[1,0,1] neg_lo:[0,0,1] neg_hi:[0,0,1]
	v_pk_add_f16 v51, v51, v60
	v_pk_add_f16 v12, v12, v50
	v_add_f16_e32 v10, v47, v10
	v_pk_fma_f16 v47, 0xb9fdbbc4, v18, v57 op_sel_hi:[1,0,1] neg_lo:[0,0,1] neg_hi:[0,0,1]
	v_pk_add_f16 v13, v53, v42 op_sel_hi:[1,0]
	v_pk_add_f16 v51, v51, v55
	v_pk_add_f16 v12, v12, v49
	v_add_f16_e32 v10, v46, v10
	v_pk_fma_f16 v46, 0x3b15b5ac, v41, v44 op_sel_hi:[1,0,1] neg_lo:[0,0,1] neg_hi:[0,0,1]
	v_pk_add_f16 v13, v13, v47
	v_pk_add_f16 v47, v51, v61
	v_pk_fma_f16 v48, 0x2fb7b9fd, v16, v48 op_sel_hi:[1,0,1]
	v_add_f16_e32 v53, v45, v10
	v_pk_mul_f16 v10, 0xbbf13770, v7 op_sel_hi:[1,0]
	v_pk_fma_f16 v45, 0xb5ac2fb7, v43, v56 op_sel_hi:[1,0,1]
	v_pk_add_f16 v13, v13, v46
	v_pk_mul_f16 v50, 0x33a8ba95, v8 op_sel_hi:[1,0]
	v_pk_fma_f16 v51, 0xb9fdbbc4, v18, v57 op_sel_hi:[1,0,1]
	v_pk_fma_f16 v46, 0x2fb73b15, v15, v10 op_sel_hi:[1,0,1] neg_lo:[0,0,1] neg_hi:[0,0,1]
	v_pk_add_f16 v45, v45, v42 op_sel_hi:[1,0]
	v_pk_mul_f16 v54, 0x3770b3a8, v9 op_sel_hi:[1,0]
	v_pk_add_f16 v55, v12, v48
	v_pk_fma_f16 v44, 0x3b15b5ac, v41, v44 op_sel_hi:[1,0,1]
	v_pk_add_f16 v12, v13, v46
	v_pk_fma_f16 v13, 0xbbc4388b, v16, v50 op_sel_hi:[1,0,1] neg_lo:[0,0,1] neg_hi:[0,0,1]
	v_pk_add_f16 v45, v45, v51
	v_pk_mul_f16 v3, 0xb3a8b94e, v3 op_sel_hi:[1,0]
	v_pk_fma_f16 v62, 0x3b15bbc4, v52, v54 op_sel_hi:[1,0,1] neg_lo:[0,0,1] neg_hi:[0,0,1]
	v_pk_fma_f16 v51, 0x3b15bbc4, v52, v54 op_sel_hi:[1,0,1]
	v_pk_add_f16 v54, v12, v13
	v_pk_add_f16 v13, v45, v44
	v_pk_fma_f16 v10, 0x2fb73b15, v15, v10 op_sel_hi:[1,0,1]
	v_pk_fma_f16 v44, 0xbbc4b9fd, v43, v3 op_sel_hi:[1,0,1] neg_lo:[0,0,1] neg_hi:[0,0,1]
	v_pk_mul_f16 v5, 0x37703bf1, v5 op_sel_hi:[1,0]
	v_pk_fma_f16 v3, 0xbbc4b9fd, v43, v3 op_sel_hi:[1,0,1]
	v_pk_mul_f16 v6, 0xb94eba95, v6 op_sel_hi:[1,0]
	v_pk_add_f16 v10, v13, v10
	v_pk_add_f16 v13, v44, v42 op_sel_hi:[1,0]
	v_pk_fma_f16 v43, 0x3b152fb7, v18, v5 op_sel_hi:[1,0,1] neg_lo:[0,0,1] neg_hi:[0,0,1]
	v_pk_add_f16 v3, v3, v42 op_sel_hi:[1,0]
	v_pk_fma_f16 v5, 0x3b152fb7, v18, v5 op_sel_hi:[1,0,1]
	v_pk_fma_f16 v18, 0xbbc4388b, v16, v50 op_sel_hi:[1,0,1]
	v_pk_fma_f16 v42, 0xb9fd388b, v41, v6 op_sel_hi:[1,0,1] neg_lo:[0,0,1] neg_hi:[0,0,1]
	v_pk_add_f16 v13, v13, v43
	v_pk_mul_f16 v7, 0x3a9533a8, v7 op_sel_hi:[1,0]
	v_pk_add_f16 v3, v3, v5
	v_pk_fma_f16 v5, 0xb9fd388b, v41, v6 op_sel_hi:[1,0,1]
	v_pk_add_f16 v57, v10, v18
	v_pk_add_f16 v6, v13, v42
	v_pk_fma_f16 v10, 0x388bbbc4, v15, v7 op_sel_hi:[1,0,1] neg_lo:[0,0,1] neg_hi:[0,0,1]
	v_pk_mul_f16 v12, 0x3a95b94e, v9 op_sel_hi:[1,0]
	v_pk_mul_f16 v8, 0xbb7b3770, v8 op_sel_hi:[1,0]
	v_pk_add_f16 v3, v3, v5
	v_pk_fma_f16 v5, 0x388bbbc4, v15, v7 op_sel_hi:[1,0,1]
	v_pk_add_f16 v50, v6, v10
	v_mad_i32_i24 v6, 0xffffffe8, v4, v40
	v_pk_add_f16 v49, v47, v62
	v_pk_fma_f16 v56, 0x388bb9fd, v52, v12 op_sel_hi:[1,0,1] neg_lo:[0,0,1] neg_hi:[0,0,1]
	v_pk_fma_f16 v7, 0x388bb9fd, v52, v12 op_sel_hi:[1,0,1]
	v_pk_fma_f16 v58, 0xb5ac3b15, v16, v8 op_sel_hi:[1,0,1] neg_lo:[0,0,1] neg_hi:[0,0,1]
	v_pk_add_f16 v5, v3, v5
	v_pk_fma_f16 v8, 0xb5ac3b15, v16, v8 op_sel_hi:[1,0,1]
	global_wb scope:SCOPE_SE
	s_wait_dscnt 0x0
	s_barrier_signal -1
	s_barrier_wait -1
	global_inv scope:SCOPE_SE
	ds_load_u16 v18, v6 offset:1404
	ds_load_u16 v16, v6 offset:1638
	ds_load_u16 v15, v6
	ds_load_u16 v13, v6 offset:234
	ds_load_u16 v10, v6 offset:468
	;; [unrolled: 1-line block ×12, first 2 shown]
	v_pk_mul_f16 v9, 0x3bf1bb7b, v9 op_sel_hi:[1,0]
	v_pk_add_f16 v5, v5, v8
	v_pk_add_f16 v58, v50, v58
	v_pk_add_f16 v55, v55, v51
	v_pk_add_f16 v7, v57, v7
	v_pk_fma_f16 v8, 0x2fb7b5ac, v52, v9 op_sel_hi:[1,0,1]
	v_pk_fma_f16 v9, 0x2fb7b5ac, v52, v9 op_sel_hi:[1,0,1] neg_lo:[0,0,1] neg_hi:[0,0,1]
	v_pk_add_f16 v50, v54, v56
	global_wb scope:SCOPE_SE
	s_wait_dscnt 0x0
	v_alignbit_b32 v7, v7, v7, 16
	v_pk_add_f16 v5, v5, v8
	v_pk_add_f16 v51, v58, v9
	v_alignbit_b32 v8, v55, v55, 16
	s_barrier_signal -1
	s_barrier_wait -1
	v_alignbit_b32 v52, v5, v5, 16
	global_inv scope:SCOPE_SE
	ds_store_b16 v40, v53
	ds_store_b128 v40, v[49:52] offset:2
	ds_store_b64 v40, v[7:8] offset:18
	s_and_saveexec_b32 s1, s0
	s_cbranch_execz .LBB0_17
; %bb.16:
	v_add_f16_e32 v5, v2, v39
	v_sub_f16_e32 v8, v29, v38
	v_add_f16_e32 v7, v39, v11
	v_sub_f16_e32 v28, v28, v35
	v_sub_f16_e32 v22, v22, v24
	v_add_f16_e32 v5, v5, v37
	v_pk_mul_f16 v24, 0xba95b770, v8 op_sel_hi:[1,0]
	v_add_f16_e32 v9, v37, v14
	v_sub_f16_e32 v26, v26, v33
	v_add_f16_e32 v33, v34, v19
	v_add_f16_e32 v5, v5, v36
	v_pk_fma_f16 v39, 0x388b3b15, v7, v24 op_sel_hi:[1,0,1] neg_lo:[0,0,1] neg_hi:[0,0,1]
	v_add_f16_e32 v29, v36, v17
	v_sub_f16_e32 v25, v25, v32
	v_pk_mul_f16 v35, 0xb3a8bbf1, v26 op_sel_hi:[1,0]
	v_add_f16_e32 v5, v5, v34
	v_pk_mul_f16 v34, 0xbb7bba95, v28 op_sel_hi:[1,0]
	v_pk_add_f16 v39, v2, v39 op_sel_hi:[0,1]
	v_sub_f16_e32 v23, v23, v31
	v_add_f16_e32 v31, v27, v21
	v_add_f16_e32 v5, v5, v30
	v_pk_fma_f16 v50, 0xb5ac388b, v9, v34 op_sel_hi:[1,0,1] neg_lo:[0,0,1] neg_hi:[0,0,1]
	v_pk_mul_f16 v36, 0x394ebb7b, v25 op_sel_hi:[1,0]
	v_add_f16_e32 v32, v30, v20
	v_pk_mul_f16 v30, 0x3bf1b94e, v23 op_sel_hi:[1,0]
	v_add_f16_e32 v5, v5, v27
	v_pk_add_f16 v39, v39, v50
	v_pk_mul_f16 v38, 0xbb7bbbf1, v8 op_sel_hi:[1,0]
	v_pk_fma_f16 v51, 0xb9fdb5ac, v33, v36 op_sel_hi:[1,0,1] neg_lo:[0,0,1] neg_hi:[0,0,1]
	v_pk_fma_f16 v24, 0x388b3b15, v7, v24 op_sel_hi:[1,0,1]
	v_add_f16_e32 v5, v5, v21
	v_pk_fma_f16 v21, 0xbbc42fb7, v29, v35 op_sel_hi:[1,0,1] neg_lo:[0,0,1] neg_hi:[0,0,1]
	v_pk_mul_f16 v37, 0x3770b3a8, v22 op_sel_hi:[1,0]
	v_pk_mul_f16 v27, 0x394eb3a8, v28 op_sel_hi:[1,0]
	v_pk_fma_f16 v52, 0x2fb7b9fd, v32, v30 op_sel_hi:[1,0,1] neg_lo:[0,0,1] neg_hi:[0,0,1]
	v_add_f16_e32 v5, v20, v5
	v_pk_add_f16 v21, v39, v21
	v_pk_fma_f16 v34, 0xb5ac388b, v9, v34 op_sel_hi:[1,0,1]
	v_pk_add_f16 v24, v2, v24 op_sel_hi:[0,1]
	v_pk_mul_f16 v49, 0x37703b7b, v26 op_sel_hi:[1,0]
	v_add_f16_e32 v5, v19, v5
	v_pk_fma_f16 v19, 0xbbc42fb7, v29, v35 op_sel_hi:[1,0,1]
	v_pk_fma_f16 v35, 0xb5ac2fb7, v7, v38 op_sel_hi:[1,0,1] neg_lo:[0,0,1] neg_hi:[0,0,1]
	v_pk_add_f16 v21, v21, v51
	v_pk_fma_f16 v20, 0x3b15bbc4, v31, v37 op_sel_hi:[1,0,1] neg_lo:[0,0,1] neg_hi:[0,0,1]
	v_add_f16_e32 v5, v17, v5
	v_pk_fma_f16 v17, 0xb9fdbbc4, v9, v27 op_sel_hi:[1,0,1] neg_lo:[0,0,1] neg_hi:[0,0,1]
	v_pk_add_f16 v35, v2, v35 op_sel_hi:[0,1]
	v_pk_add_f16 v24, v24, v34
	v_pk_add_f16 v21, v21, v52
	v_add_f16_e32 v5, v14, v5
	v_pk_fma_f16 v14, 0xb9fdb5ac, v33, v36 op_sel_hi:[1,0,1]
	v_pk_add_f16 v17, v35, v17
	v_pk_add_f16 v24, v24, v19
	;; [unrolled: 1-line block ×3, first 2 shown]
	v_add_f16_e32 v5, v11, v5
	v_pk_fma_f16 v11, 0x3b15b5ac, v29, v49 op_sel_hi:[1,0,1] neg_lo:[0,0,1] neg_hi:[0,0,1]
	v_pk_mul_f16 v20, 0xbbf13770, v25 op_sel_hi:[1,0]
	v_pk_add_f16 v14, v24, v14
	v_pk_fma_f16 v21, 0x2fb7b9fd, v32, v30 op_sel_hi:[1,0,1]
	v_pk_fma_f16 v24, 0xb5ac2fb7, v7, v38 op_sel_hi:[1,0,1]
	v_pk_add_f16 v11, v17, v11
	v_pk_fma_f16 v17, 0x2fb73b15, v33, v20 op_sel_hi:[1,0,1] neg_lo:[0,0,1] neg_hi:[0,0,1]
	v_pk_mul_f16 v30, 0x33a8ba95, v23 op_sel_hi:[1,0]
	v_pk_add_f16 v14, v14, v21
	v_pk_add_f16 v21, v2, v24 op_sel_hi:[0,1]
	v_pk_fma_f16 v24, 0xb9fdbbc4, v9, v27 op_sel_hi:[1,0,1]
	v_pk_add_f16 v11, v11, v17
	v_pk_fma_f16 v17, 0xbbc4388b, v32, v30 op_sel_hi:[1,0,1] neg_lo:[0,0,1] neg_hi:[0,0,1]
	v_pk_mul_f16 v8, 0xb3a8b94e, v8 op_sel_hi:[1,0]
	v_pk_mul_f16 v28, 0x37703bf1, v28 op_sel_hi:[1,0]
	v_pk_add_f16 v21, v21, v24
	v_pk_fma_f16 v24, 0x3b15b5ac, v29, v49 op_sel_hi:[1,0,1]
	v_pk_add_f16 v11, v11, v17
	v_pk_fma_f16 v17, 0xbbc4b9fd, v7, v8 op_sel_hi:[1,0,1]
	v_pk_fma_f16 v7, 0xbbc4b9fd, v7, v8 op_sel_hi:[1,0,1] neg_lo:[0,0,1] neg_hi:[0,0,1]
	v_pk_fma_f16 v20, 0x2fb73b15, v33, v20 op_sel_hi:[1,0,1]
	v_pk_add_f16 v21, v21, v24
	v_pk_mul_f16 v24, 0xb94eba95, v26 op_sel_hi:[1,0]
	v_pk_add_f16 v8, v2, v17 op_sel_hi:[0,1]
	v_pk_fma_f16 v17, 0x3b152fb7, v9, v28 op_sel_hi:[1,0,1]
	v_pk_add_f16 v2, v2, v7 op_sel_hi:[0,1]
	v_pk_fma_f16 v7, 0x3b152fb7, v9, v28 op_sel_hi:[1,0,1] neg_lo:[0,0,1] neg_hi:[0,0,1]
	v_pk_fma_f16 v9, 0xb9fd388b, v29, v24 op_sel_hi:[1,0,1]
	v_pk_add_f16 v20, v21, v20
	v_pk_add_f16 v8, v8, v17
	v_pk_mul_f16 v17, 0x3a9533a8, v25 op_sel_hi:[1,0]
	v_pk_add_f16 v2, v2, v7
	v_pk_fma_f16 v7, 0xb9fd388b, v29, v24 op_sel_hi:[1,0,1] neg_lo:[0,0,1] neg_hi:[0,0,1]
	v_pk_mul_f16 v21, 0xbb7b3770, v23 op_sel_hi:[1,0]
	v_pk_add_f16 v8, v8, v9
	v_pk_fma_f16 v9, 0x388bbbc4, v33, v17 op_sel_hi:[1,0,1]
	v_pk_mul_f16 v34, 0x3a95b94e, v22 op_sel_hi:[1,0]
	v_pk_add_f16 v2, v2, v7
	v_pk_fma_f16 v7, 0x388bbbc4, v33, v17 op_sel_hi:[1,0,1] neg_lo:[0,0,1] neg_hi:[0,0,1]
	v_pk_mul_f16 v17, 0x3bf1bb7b, v22 op_sel_hi:[1,0]
	v_pk_add_f16 v8, v8, v9
	v_pk_fma_f16 v9, 0xb5ac3b15, v32, v21 op_sel_hi:[1,0,1]
	v_pk_fma_f16 v23, 0xbbc4388b, v32, v30 op_sel_hi:[1,0,1]
	v_pk_add_f16 v2, v2, v7
	v_pk_fma_f16 v7, 0xb5ac3b15, v32, v21 op_sel_hi:[1,0,1] neg_lo:[0,0,1] neg_hi:[0,0,1]
	v_pk_fma_f16 v27, 0x3b15bbc4, v31, v37 op_sel_hi:[1,0,1]
	v_pk_add_f16 v8, v8, v9
	v_pk_fma_f16 v9, 0x2fb7b5ac, v31, v17 op_sel_hi:[1,0,1]
	v_pk_add_f16 v20, v20, v23
	v_pk_fma_f16 v21, 0x388bb9fd, v31, v34 op_sel_hi:[1,0,1]
	v_pk_fma_f16 v22, 0x388bb9fd, v31, v34 op_sel_hi:[1,0,1] neg_lo:[0,0,1] neg_hi:[0,0,1]
	v_pk_add_f16 v2, v2, v7
	v_pk_fma_f16 v7, 0x2fb7b5ac, v31, v17 op_sel_hi:[1,0,1] neg_lo:[0,0,1] neg_hi:[0,0,1]
	v_pk_add_f16 v8, v8, v9
	v_pk_add_f16 v9, v20, v21
	;; [unrolled: 1-line block ×5, first 2 shown]
	v_alignbit_b32 v22, v8, v8, 16
	v_alignbit_b32 v7, v9, v9, 16
	;; [unrolled: 1-line block ×3, first 2 shown]
	ds_store_b16 v40, v5 offset:3042
	ds_store_b128 v40, v[19:22] offset:3044
	ds_store_b64 v40, v[7:8] offset:3060
.LBB0_17:
	s_wait_alu 0xfffe
	s_or_b32 exec_lo, exec_lo, s1
	v_and_b32_e32 v33, 0xff, v4
	v_add_nc_u32_e32 v8, 0x75, v4
	v_add_nc_u32_e32 v5, 0xea, v4
	;; [unrolled: 1-line block ×4, first 2 shown]
	v_mul_lo_u16 v2, 0x4f, v33
	v_and_b32_e32 v34, 0xff, v8
	global_wb scope:SCOPE_SE
	s_wait_dscnt 0x0
	v_and_b32_e32 v11, 0xffff, v9
	v_and_b32_e32 v14, 0xffff, v7
	v_lshrrev_b16 v35, 10, v2
	v_and_b32_e32 v2, 0xffff, v5
	v_mul_lo_u16 v17, 0x4f, v34
	s_barrier_signal -1
	v_mul_u32_u24_e32 v21, 0x4ec5, v14
	v_mul_lo_u16 v19, v35, 13
	v_mul_u32_u24_e32 v20, 0x4ec5, v2
	v_lshrrev_b16 v36, 10, v17
	v_mul_u32_u24_e32 v17, 0x4ec5, v11
	v_lshrrev_b32_e32 v39, 18, v21
	v_sub_nc_u16 v19, v4, v19
	v_lshrrev_b32_e32 v37, 18, v20
	v_mul_lo_u16 v20, v36, 13
	v_lshrrev_b32_e32 v38, 18, v17
	v_mul_lo_u16 v21, v39, 13
	v_and_b32_e32 v40, 0xff, v19
	v_mul_lo_u16 v17, v37, 13
	v_sub_nc_u16 v19, v8, v20
	v_mul_lo_u16 v20, v38, 13
	s_barrier_wait -1
	v_lshlrev_b32_e32 v22, 3, v40
	v_sub_nc_u16 v17, v5, v17
	v_and_b32_e32 v49, 0xff, v19
	v_sub_nc_u16 v19, v9, v20
	v_sub_nc_u16 v20, v7, v21
	global_inv scope:SCOPE_SE
	v_and_b32_e32 v50, 0xffff, v17
	v_lshlrev_b32_e32 v17, 3, v49
	v_and_b32_e32 v51, 0xffff, v19
	v_and_b32_e32 v52, 0xffff, v20
	global_load_b64 v[23:24], v22, s[4:5]
	v_lshlrev_b32_e32 v19, 3, v50
	global_load_b64 v[25:26], v17, s[4:5]
	v_lshlrev_b32_e32 v20, 3, v51
	v_lshlrev_b32_e32 v17, 3, v52
	s_clause 0x2
	global_load_b64 v[27:28], v19, s[4:5]
	global_load_b64 v[29:30], v20, s[4:5]
	;; [unrolled: 1-line block ×3, first 2 shown]
	v_mul_lo_u16 v33, 0xa5, v33
	v_mul_lo_u16 v34, 0xa5, v34
	v_mul_u32_u24_e32 v63, 0xa41b, v2
	ds_load_u16 v53, v6 offset:1404
	ds_load_u16 v54, v6 offset:1638
	ds_load_u16 v22, v6
	ds_load_u16 v21, v6 offset:234
	ds_load_u16 v20, v6 offset:468
	;; [unrolled: 1-line block ×12, first 2 shown]
	v_lshrrev_b16 v33, 8, v33
	v_lshrrev_b16 v34, 8, v34
	v_lshrrev_b32_e32 v63, 16, v63
	v_mul_u32_u24_e32 v64, 0xa41b, v11
	v_mul_u32_u24_e32 v65, 0xa41b, v14
	v_sub_nc_u16 v66, v4, v33
	v_sub_nc_u16 v67, v8, v34
	;; [unrolled: 1-line block ×3, first 2 shown]
	v_lshrrev_b32_e32 v64, 16, v64
	v_lshrrev_b32_e32 v65, 16, v65
	v_lshrrev_b16 v66, 1, v66
	v_lshrrev_b16 v67, 1, v67
	;; [unrolled: 1-line block ×3, first 2 shown]
	v_sub_nc_u16 v69, v9, v64
	v_sub_nc_u16 v70, v7, v65
	v_and_b32_e32 v66, 0x7f, v66
	v_and_b32_e32 v35, 0xffff, v35
	v_add_nc_u16 v63, v68, v63
	v_lshrrev_b16 v69, 1, v69
	v_lshrrev_b16 v70, 1, v70
	v_add_nc_u16 v33, v66, v33
	v_and_b32_e32 v66, 0x7f, v67
	v_mul_u32_u24_e32 v35, 0x4e, v35
	v_and_b32_e32 v36, 0xffff, v36
	v_lshlrev_b32_e32 v40, 1, v40
	v_lshrrev_b16 v33, 5, v33
	v_add_nc_u16 v34, v66, v34
	v_add_nc_u16 v64, v69, v64
	v_mul_u32_u24_e32 v39, 0x4e, v39
	v_add_nc_u16 v65, v70, v65
	v_lshlrev_b32_e32 v52, 1, v52
	v_lshrrev_b16 v34, 5, v34
	v_and_b32_e32 v33, 7, v33
	v_mul_u32_u24_e32 v36, 0x4e, v36
	v_lshlrev_b32_e32 v49, 1, v49
	v_add3_u32 v35, 0, v35, v40
	v_lshrrev_b16 v40, 5, v63
	v_and_b32_e32 v34, 7, v34
	v_mul_u32_u24_e32 v37, 0x4e, v37
	v_lshlrev_b32_e32 v50, 1, v50
	v_lshrrev_b16 v63, 5, v64
	v_mul_u32_u24_e32 v38, 0x4e, v38
	v_lshlrev_b32_e32 v51, 1, v51
	v_lshrrev_b16 v64, 5, v65
	v_add3_u32 v39, 0, v39, v52
	v_mul_lo_u16 v52, v33, 39
	v_add3_u32 v36, 0, v36, v49
	v_mul_lo_u16 v49, v40, 39
	v_mul_lo_u16 v65, v34, 39
	v_add3_u32 v37, 0, v37, v50
	v_mul_lo_u16 v50, v63, 39
	v_add3_u32 v38, 0, v38, v51
	v_mul_lo_u16 v51, v64, 39
	v_sub_nc_u16 v52, v4, v52
	v_sub_nc_u16 v49, v5, v49
	;; [unrolled: 1-line block ×5, first 2 shown]
	v_and_b32_e32 v52, 0xff, v52
	v_and_b32_e32 v49, 0xffff, v49
	;; [unrolled: 1-line block ×5, first 2 shown]
	v_lshlrev_b32_e32 v69, 3, v52
	v_lshlrev_b32_e32 v67, 3, v49
	;; [unrolled: 1-line block ×3, first 2 shown]
	global_wb scope:SCOPE_SE
	s_wait_loadcnt_dscnt 0x0
	s_barrier_signal -1
	s_barrier_wait -1
	global_inv scope:SCOPE_SE
	v_and_b32_e32 v33, 0xffff, v33
	v_and_b32_e32 v34, 0xffff, v34
	v_mul_u32_u24_e32 v2, 0x8c09, v2
	s_delay_alu instid0(VALU_DEP_3) | instskip(NEXT) | instid1(VALU_DEP_3)
	v_mul_u32_u24_e32 v33, 0xea, v33
	v_mul_u32_u24_e32 v34, 0xea, v34
	v_lshrrev_b32_e32 v66, 16, v23
	v_lshrrev_b32_e32 v68, 16, v24
	;; [unrolled: 1-line block ×4, first 2 shown]
	s_delay_alu instid0(VALU_DEP_4)
	v_mul_f16_e32 v71, v56, v66
	v_mul_f16_e32 v66, v47, v66
	;; [unrolled: 1-line block ×4, first 2 shown]
	v_lshrrev_b32_e32 v75, 16, v27
	v_lshrrev_b32_e32 v76, 16, v28
	;; [unrolled: 1-line block ×6, first 2 shown]
	v_fmac_f16_e32 v71, v47, v23
	v_fma_f16 v23, v56, v23, -v66
	v_fmac_f16_e32 v72, v48, v24
	v_fma_f16 v24, v61, v24, -v68
	v_mul_f16_e32 v47, v53, v73
	v_mul_f16_e32 v48, v18, v73
	;; [unrolled: 1-line block ×16, first 2 shown]
	v_fmac_f16_e32 v47, v18, v25
	v_fma_f16 v18, v53, v25, -v48
	v_fmac_f16_e32 v56, v46, v26
	v_fma_f16 v25, v57, v26, -v61
	;; [unrolled: 2-line block ×3, first 2 shown]
	v_fmac_f16_e32 v75, v41, v29
	v_fmac_f16_e32 v77, v43, v30
	v_fma_f16 v28, v59, v30, -v78
	v_fmac_f16_e32 v82, v42, v32
	v_fma_f16 v30, v60, v32, -v80
	v_add_f16_e32 v32, v71, v72
	v_fmac_f16_e32 v66, v16, v27
	v_fmac_f16_e32 v81, v44, v31
	v_sub_f16_e32 v41, v23, v24
	v_add_f16_e32 v42, v22, v23
	v_add_f16_e32 v23, v23, v24
	v_fma_f16 v16, v54, v27, -v68
	v_fma_f16 v27, v55, v29, -v76
	;; [unrolled: 1-line block ×3, first 2 shown]
	v_add_f16_e32 v31, v15, v71
	v_fmac_f16_e32 v15, -0.5, v32
	v_add_f16_e32 v32, v47, v56
	v_add_f16_e32 v57, v75, v77
	v_add_f16_e32 v24, v42, v24
	v_fmac_f16_e32 v22, -0.5, v23
	v_add_f16_e32 v23, v13, v47
	v_sub_f16_e32 v42, v18, v25
	v_add_f16_e32 v44, v21, v18
	v_add_f16_e32 v18, v18, v25
	v_sub_f16_e32 v45, v47, v56
	v_add_f16_e32 v47, v66, v73
	v_add_f16_e32 v62, v81, v82
	;; [unrolled: 1-line block ×3, first 2 shown]
	v_sub_f16_e32 v48, v16, v26
	v_add_f16_e32 v53, v20, v16
	v_add_f16_e32 v16, v16, v26
	v_sub_f16_e32 v54, v66, v73
	v_sub_f16_e32 v58, v27, v28
	v_add_f16_e32 v59, v17, v27
	v_add_f16_e32 v27, v27, v28
	v_sub_f16_e32 v66, v29, v30
	v_add_f16_e32 v68, v19, v29
	v_add_f16_e32 v29, v29, v30
	v_sub_f16_e32 v43, v71, v72
	v_add_f16_e32 v55, v3, v75
	v_fmac_f16_e32 v13, -0.5, v32
	v_fmac_f16_e32 v3, -0.5, v57
	v_add_f16_e32 v31, v31, v72
	v_add_f16_e32 v61, v12, v81
	v_fmac_f16_e32 v21, -0.5, v18
	v_fmac_f16_e32 v10, -0.5, v47
	;; [unrolled: 1-line block ×3, first 2 shown]
	v_sub_f16_e32 v60, v75, v77
	v_sub_f16_e32 v71, v81, v82
	v_fmamk_f16 v72, v41, 0xbaee, v15
	v_fmac_f16_e32 v20, -0.5, v16
	v_fmac_f16_e32 v17, -0.5, v27
	;; [unrolled: 1-line block ×3, first 2 shown]
	v_fmac_f16_e32 v15, 0x3aee, v41
	v_fmamk_f16 v41, v43, 0x3aee, v22
	v_fmac_f16_e32 v22, 0xbaee, v43
	v_add_f16_e32 v23, v23, v56
	v_add_f16_e32 v25, v44, v25
	v_fmamk_f16 v29, v42, 0xbaee, v13
	v_fmamk_f16 v44, v58, 0xbaee, v3
	v_fmac_f16_e32 v3, 0x3aee, v58
	v_add_f16_e32 v18, v46, v73
	v_add_f16_e32 v16, v55, v77
	;; [unrolled: 1-line block ×3, first 2 shown]
	v_fmac_f16_e32 v13, 0x3aee, v42
	v_fmamk_f16 v32, v45, 0x3aee, v21
	v_fmamk_f16 v42, v48, 0xbaee, v10
	v_fmac_f16_e32 v10, 0x3aee, v48
	v_fmamk_f16 v46, v66, 0xbaee, v12
	v_fmac_f16_e32 v12, 0x3aee, v66
	ds_store_b16 v35, v31
	ds_store_b16 v35, v72 offset:26
	ds_store_b16 v35, v15 offset:52
	ds_store_b16 v36, v23
	ds_store_b16 v36, v29 offset:26
	ds_store_b16 v36, v13 offset:52
	;; [unrolled: 3-line block ×5, first 2 shown]
	v_lshlrev_b32_e32 v3, 3, v50
	v_add_f16_e32 v26, v53, v26
	v_add_f16_e32 v28, v59, v28
	;; [unrolled: 1-line block ×3, first 2 shown]
	v_fmac_f16_e32 v21, 0xbaee, v45
	v_fmamk_f16 v43, v54, 0x3aee, v20
	v_fmac_f16_e32 v20, 0xbaee, v54
	v_fmamk_f16 v45, v60, 0x3aee, v17
	;; [unrolled: 2-line block ×3, first 2 shown]
	v_fmac_f16_e32 v19, 0xbaee, v71
	global_wb scope:SCOPE_SE
	s_wait_dscnt 0x0
	s_barrier_signal -1
	s_barrier_wait -1
	global_inv scope:SCOPE_SE
	ds_load_u16 v23, v6 offset:1404
	ds_load_u16 v27, v6 offset:1638
	ds_load_u16 v29, v6
	ds_load_u16 v31, v6 offset:234
	ds_load_u16 v42, v6 offset:468
	;; [unrolled: 1-line block ×12, first 2 shown]
	global_wb scope:SCOPE_SE
	s_wait_dscnt 0x0
	s_barrier_signal -1
	s_barrier_wait -1
	global_inv scope:SCOPE_SE
	ds_store_b16 v35, v24
	ds_store_b16 v35, v41 offset:26
	ds_store_b16 v35, v22 offset:52
	ds_store_b16 v36, v25
	ds_store_b16 v36, v32 offset:26
	ds_store_b16 v36, v21 offset:52
	;; [unrolled: 3-line block ×5, first 2 shown]
	global_wb scope:SCOPE_SE
	s_wait_dscnt 0x0
	s_barrier_signal -1
	s_barrier_wait -1
	global_inv scope:SCOPE_SE
	s_clause 0x1
	global_load_b64 v[12:13], v69, s[4:5] offset:104
	global_load_b64 v[15:16], v70, s[4:5] offset:104
	v_lshlrev_b32_e32 v10, 3, v51
	s_clause 0x2
	global_load_b64 v[17:18], v67, s[4:5] offset:104
	global_load_b64 v[19:20], v3, s[4:5] offset:104
	;; [unrolled: 1-line block ×3, first 2 shown]
	v_and_b32_e32 v26, 0xffff, v40
	v_and_b32_e32 v28, 0xffff, v63
	;; [unrolled: 1-line block ×3, first 2 shown]
	v_lshlrev_b32_e32 v35, 1, v49
	v_lshlrev_b32_e32 v36, 1, v50
	v_mul_u32_u24_e32 v26, 0xea, v26
	v_mul_u32_u24_e32 v28, 0xea, v28
	;; [unrolled: 1-line block ×3, first 2 shown]
	v_lshlrev_b32_e32 v37, 1, v51
	v_lshlrev_b32_e32 v38, 1, v52
	;; [unrolled: 1-line block ×3, first 2 shown]
	v_add3_u32 v26, 0, v26, v35
	v_add3_u32 v28, 0, v28, v36
	;; [unrolled: 1-line block ×5, first 2 shown]
	ds_load_u16 v35, v6 offset:1404
	ds_load_u16 v36, v6 offset:1638
	ds_load_u16 v37, v6
	ds_load_u16 v38, v6 offset:234
	ds_load_u16 v39, v6 offset:468
	;; [unrolled: 1-line block ×12, first 2 shown]
	v_mul_u32_u24_e32 v3, 0x8c09, v11
	v_mul_u32_u24_e32 v10, 0x8c09, v14
	v_lshrrev_b32_e32 v11, 22, v2
	v_lshlrev_b32_e32 v2, 1, v4
	global_wb scope:SCOPE_SE
	s_wait_loadcnt_dscnt 0x0
	v_lshrrev_b32_e32 v14, 22, v3
	v_lshrrev_b32_e32 v10, 22, v10
	v_mul_lo_u16 v11, 0x75, v11
	v_mov_b32_e32 v3, 0
	s_barrier_signal -1
	v_mul_lo_u16 v14, 0x75, v14
	v_mul_lo_u16 v24, 0x75, v10
	v_sub_nc_u16 v25, v5, v11
	v_lshlrev_b64_e32 v[10:11], 2, v[2:3]
	s_barrier_wait -1
	v_sub_nc_u16 v2, v9, v14
	v_sub_nc_u16 v14, v7, v24
	v_and_b32_e32 v24, 0xffff, v25
	global_inv scope:SCOPE_SE
	v_add_co_u32 v10, s0, s4, v10
	v_and_b32_e32 v2, 0xffff, v2
	s_wait_alu 0xf1ff
	v_add_co_ci_u32_e64 v11, s0, s5, v11, s0
	v_and_b32_e32 v25, 0xffff, v14
	v_lshlrev_b32_e32 v14, 3, v24
	v_lshlrev_b32_e32 v32, 3, v2
	v_lshl_add_u32 v2, v2, 1, 0
	v_lshrrev_b32_e32 v61, 16, v12
	v_lshrrev_b32_e32 v62, 16, v13
	;; [unrolled: 1-line block ×10, first 2 shown]
	v_mul_f16_e32 v71, v43, v61
	v_mul_f16_e32 v61, v48, v61
	;; [unrolled: 1-line block ×20, first 2 shown]
	v_fmac_f16_e32 v71, v48, v12
	v_fma_f16 v12, v43, v12, -v61
	v_fmac_f16_e32 v72, v58, v13
	v_fma_f16 v13, v47, v13, -v62
	;; [unrolled: 2-line block ×4, first 2 shown]
	v_fmac_f16_e32 v75, v27, v17
	v_fmac_f16_e32 v76, v55, v18
	v_fmac_f16_e32 v77, v46, v19
	v_fmac_f16_e32 v78, v56, v20
	v_fmac_f16_e32 v79, v59, v21
	v_fmac_f16_e32 v80, v57, v22
	v_fma_f16 v17, v36, v17, -v65
	v_fma_f16 v18, v50, v18, -v66
	v_fma_f16 v19, v41, v19, -v67
	v_fma_f16 v20, v51, v20, -v68
	v_fma_f16 v21, v60, v21, -v69
	v_fma_f16 v22, v52, v22, -v70
	v_add_f16_e32 v27, v71, v72
	v_sub_f16_e32 v35, v12, v13
	v_add_f16_e32 v36, v37, v12
	v_add_f16_e32 v12, v12, v13
	;; [unrolled: 1-line block ×3, first 2 shown]
	v_sub_f16_e32 v47, v15, v16
	v_add_f16_e32 v48, v38, v15
	v_add_f16_e32 v15, v15, v16
	;; [unrolled: 1-line block ×6, first 2 shown]
	v_sub_f16_e32 v52, v17, v18
	v_add_f16_e32 v54, v39, v17
	v_add_f16_e32 v17, v17, v18
	v_sub_f16_e32 v58, v19, v20
	v_add_f16_e32 v59, v40, v19
	v_add_f16_e32 v19, v19, v20
	;; [unrolled: 3-line block ×3, first 2 shown]
	v_sub_f16_e32 v41, v71, v72
	v_fmac_f16_e32 v29, -0.5, v27
	v_fmac_f16_e32 v37, -0.5, v12
	v_add_f16_e32 v43, v31, v73
	v_sub_f16_e32 v49, v73, v74
	v_add_f16_e32 v50, v42, v75
	v_add_f16_e32 v56, v44, v77
	;; [unrolled: 1-line block ×3, first 2 shown]
	v_fmac_f16_e32 v31, -0.5, v46
	v_fmac_f16_e32 v38, -0.5, v15
	;; [unrolled: 1-line block ×5, first 2 shown]
	v_sub_f16_e32 v55, v75, v76
	v_sub_f16_e32 v60, v77, v78
	;; [unrolled: 1-line block ×3, first 2 shown]
	v_add_f16_e32 v23, v23, v72
	v_add_f16_e32 v13, v36, v13
	v_fmac_f16_e32 v39, -0.5, v17
	v_fmac_f16_e32 v40, -0.5, v19
	;; [unrolled: 1-line block ×3, first 2 shown]
	v_fmamk_f16 v21, v35, 0xbaee, v29
	v_fmamk_f16 v27, v41, 0x3aee, v37
	v_fmac_f16_e32 v29, 0x3aee, v35
	v_fmac_f16_e32 v37, 0xbaee, v41
	v_add_f16_e32 v12, v43, v74
	v_add_f16_e32 v16, v48, v16
	;; [unrolled: 1-line block ×3, first 2 shown]
	v_fmamk_f16 v35, v47, 0xbaee, v31
	v_fmac_f16_e32 v31, 0x3aee, v47
	v_fmamk_f16 v36, v49, 0x3aee, v38
	v_fmamk_f16 v41, v52, 0xbaee, v42
	v_fmac_f16_e32 v42, 0x3aee, v52
	v_fmamk_f16 v46, v58, 0xbaee, v44
	v_fmac_f16_e32 v44, 0x3aee, v58
	;; [unrolled: 2-line block ×3, first 2 shown]
	v_add_f16_e32 v15, v50, v76
	v_add_f16_e32 v18, v54, v18
	;; [unrolled: 1-line block ×5, first 2 shown]
	v_fmac_f16_e32 v38, 0xbaee, v49
	v_fmamk_f16 v43, v55, 0x3aee, v39
	v_fmac_f16_e32 v39, 0xbaee, v55
	v_fmamk_f16 v47, v60, 0x3aee, v40
	;; [unrolled: 2-line block ×3, first 2 shown]
	v_fmac_f16_e32 v45, 0xbaee, v65
	ds_store_b16 v33, v23
	ds_store_b16 v33, v21 offset:78
	ds_store_b16 v33, v29 offset:156
	ds_store_b16 v34, v12
	ds_store_b16 v34, v35 offset:78
	ds_store_b16 v34, v31 offset:156
	;; [unrolled: 3-line block ×5, first 2 shown]
	global_wb scope:SCOPE_SE
	s_wait_dscnt 0x0
	s_barrier_signal -1
	s_barrier_wait -1
	global_inv scope:SCOPE_SE
	ds_load_u16 v19, v6 offset:1404
	ds_load_u16 v21, v6 offset:1638
	ds_load_u16 v23, v6
	ds_load_u16 v29, v6 offset:234
	ds_load_u16 v31, v6 offset:468
	;; [unrolled: 1-line block ×12, first 2 shown]
	global_wb scope:SCOPE_SE
	s_wait_dscnt 0x0
	s_barrier_signal -1
	s_barrier_wait -1
	global_inv scope:SCOPE_SE
	ds_store_b16 v33, v13
	ds_store_b16 v33, v27 offset:78
	ds_store_b16 v33, v37 offset:156
	ds_store_b16 v34, v16
	ds_store_b16 v34, v36 offset:78
	ds_store_b16 v34, v38 offset:156
	;; [unrolled: 3-line block ×5, first 2 shown]
	global_wb scope:SCOPE_SE
	s_wait_dscnt 0x0
	s_barrier_signal -1
	s_barrier_wait -1
	global_inv scope:SCOPE_SE
	global_load_b64 v[10:11], v[10:11], off offset:416
	v_lshlrev_b32_e32 v16, 3, v25
	s_clause 0x2
	global_load_b64 v[12:13], v14, s[4:5] offset:416
	global_load_b64 v[14:15], v32, s[4:5] offset:416
	;; [unrolled: 1-line block ×3, first 2 shown]
	v_lshl_add_u32 v26, v24, 1, 0
	ds_load_u16 v18, v6 offset:1404
	ds_load_u16 v20, v6 offset:1638
	ds_load_u16 v27, v6
	ds_load_u16 v28, v6 offset:234
	ds_load_u16 v30, v6 offset:468
	;; [unrolled: 1-line block ×12, first 2 shown]
	v_lshl_add_u32 v25, v25, 1, 0
	global_wb scope:SCOPE_SE
	s_wait_loadcnt_dscnt 0x0
	s_barrier_signal -1
	s_barrier_wait -1
	global_inv scope:SCOPE_SE
	v_lshrrev_b32_e32 v43, 16, v10
	v_lshrrev_b32_e32 v45, 16, v11
	;; [unrolled: 1-line block ×8, first 2 shown]
	v_mul_f16_e32 v58, v24, v43
	v_mul_f16_e32 v60, v34, v45
	;; [unrolled: 1-line block ×13, first 2 shown]
	v_fmac_f16_e32 v58, v42, v10
	v_fmac_f16_e32 v60, v52, v11
	v_mul_f16_e32 v43, v19, v43
	v_mul_f16_e32 v45, v46, v45
	;; [unrolled: 1-line block ×7, first 2 shown]
	v_fmac_f16_e32 v62, v19, v10
	v_fmac_f16_e32 v63, v46, v11
	;; [unrolled: 1-line block ×8, first 2 shown]
	v_fma_f16 v24, v24, v10, -v59
	v_fma_f16 v34, v34, v11, -v61
	;; [unrolled: 1-line block ×3, first 2 shown]
	v_add_f16_e32 v19, v58, v60
	v_fma_f16 v10, v18, v10, -v43
	v_fma_f16 v11, v36, v11, -v45
	;; [unrolled: 1-line block ×7, first 2 shown]
	v_add_f16_e32 v37, v62, v63
	v_add_f16_e32 v42, v64, v65
	;; [unrolled: 1-line block ×6, first 2 shown]
	v_sub_f16_e32 v20, v24, v34
	v_add_f16_e32 v45, v30, v12
	v_fmac_f16_e32 v23, -0.5, v19
	v_add_f16_e32 v36, v29, v62
	v_sub_f16_e32 v38, v10, v11
	v_add_f16_e32 v39, v28, v10
	v_add_f16_e32 v10, v10, v11
	;; [unrolled: 1-line block ×3, first 2 shown]
	v_sub_f16_e32 v43, v12, v13
	v_add_f16_e32 v12, v12, v13
	v_add_f16_e32 v47, v35, v66
	v_sub_f16_e32 v49, v14, v15
	v_add_f16_e32 v50, v32, v14
	v_add_f16_e32 v14, v14, v15
	;; [unrolled: 1-line block ×3, first 2 shown]
	v_sub_f16_e32 v54, v16, v17
	v_add_f16_e32 v55, v33, v16
	v_add_f16_e32 v16, v16, v17
	v_fmac_f16_e32 v29, -0.5, v37
	v_fmac_f16_e32 v31, -0.5, v42
	;; [unrolled: 1-line block ×4, first 2 shown]
	v_add_f16_e32 v21, v27, v24
	v_sub_f16_e32 v24, v58, v60
	v_add_f16_e32 v18, v18, v60
	v_fmac_f16_e32 v27, -0.5, v22
	v_add_f16_e32 v37, v45, v13
	v_fmamk_f16 v13, v20, 0xbaee, v23
	v_fmac_f16_e32 v23, 0x3aee, v20
	v_add_f16_e32 v19, v36, v63
	v_add_f16_e32 v36, v39, v11
	v_fmac_f16_e32 v28, -0.5, v10
	v_add_f16_e32 v10, v41, v65
	v_fmac_f16_e32 v30, -0.5, v12
	v_add_f16_e32 v11, v47, v67
	v_add_f16_e32 v39, v50, v15
	v_fmac_f16_e32 v32, -0.5, v14
	v_add_f16_e32 v12, v52, v69
	v_add_f16_e32 v41, v55, v17
	v_fmac_f16_e32 v33, -0.5, v16
	v_fmamk_f16 v14, v38, 0xbaee, v29
	v_fmamk_f16 v15, v43, 0xbaee, v31
	;; [unrolled: 1-line block ×4, first 2 shown]
	v_add_f16_e32 v34, v21, v34
	v_fmamk_f16 v42, v24, 0x3aee, v27
	v_fmac_f16_e32 v27, 0xbaee, v24
	v_fmac_f16_e32 v29, 0x3aee, v38
	;; [unrolled: 1-line block ×5, first 2 shown]
	ds_store_b16 v6, v18
	ds_store_b16 v6, v13 offset:234
	ds_store_b16 v6, v23 offset:468
	ds_store_b16 v6, v19 offset:702
	ds_store_b16 v6, v14 offset:936
	ds_store_b16 v6, v29 offset:1170
	ds_store_b16 v26, v10 offset:1404
	ds_store_b16 v26, v15 offset:1638
	ds_store_b16 v26, v31 offset:1872
	ds_store_b16 v2, v11 offset:2106
	ds_store_b16 v2, v16 offset:2340
	ds_store_b16 v2, v35 offset:2574
	ds_store_b16 v25, v12 offset:2808
	ds_store_b16 v25, v17 offset:3042
	ds_store_b16 v25, v44 offset:3276
	global_wb scope:SCOPE_SE
	s_wait_dscnt 0x0
	s_barrier_signal -1
	s_barrier_wait -1
	global_inv scope:SCOPE_SE
	ds_load_u16 v11, v6
	ds_load_u16 v10, v6 offset:234
	ds_load_u16 v17, v6 offset:936
	;; [unrolled: 1-line block ×14, first 2 shown]
	v_sub_f16_e32 v40, v62, v63
	v_sub_f16_e32 v46, v64, v65
	v_sub_f16_e32 v51, v66, v67
	v_sub_f16_e32 v56, v68, v69
	global_wb scope:SCOPE_SE
	s_wait_dscnt 0x0
	v_fmamk_f16 v38, v40, 0x3aee, v28
	v_fmac_f16_e32 v28, 0xbaee, v40
	v_fmamk_f16 v40, v46, 0x3aee, v30
	v_fmac_f16_e32 v30, 0xbaee, v46
	;; [unrolled: 2-line block ×4, first 2 shown]
	s_barrier_signal -1
	s_barrier_wait -1
	global_inv scope:SCOPE_SE
	ds_store_b16 v6, v34
	ds_store_b16 v6, v42 offset:234
	ds_store_b16 v6, v27 offset:468
	ds_store_b16 v6, v36 offset:702
	ds_store_b16 v6, v38 offset:936
	ds_store_b16 v6, v28 offset:1170
	ds_store_b16 v26, v37 offset:1404
	ds_store_b16 v26, v40 offset:1638
	ds_store_b16 v26, v30 offset:1872
	ds_store_b16 v2, v39 offset:2106
	ds_store_b16 v2, v43 offset:2340
	ds_store_b16 v2, v32 offset:2574
	ds_store_b16 v25, v41 offset:2808
	ds_store_b16 v25, v45 offset:3042
	ds_store_b16 v25, v33 offset:3276
	global_wb scope:SCOPE_SE
	s_wait_dscnt 0x0
	s_barrier_signal -1
	s_barrier_wait -1
	global_inv scope:SCOPE_SE
	s_and_saveexec_b32 s0, vcc_lo
	s_cbranch_execz .LBB0_19
; %bb.18:
	v_mad_co_u64_u32 v[37:38], null, s8, v4, 0
	v_lshlrev_b32_e32 v2, 2, v5
	v_add_nc_u32_e32 v62, 0x57c, v4
	v_mad_co_u64_u32 v[39:40], null, s8, v9, 0
	v_mad_co_u64_u32 v[41:42], null, s8, v8, 0
	s_delay_alu instid0(VALU_DEP_4) | instskip(NEXT) | instid1(VALU_DEP_4)
	v_lshlrev_b64_e32 v[25:26], 2, v[2:3]
	v_mad_co_u64_u32 v[49:50], null, s8, v62, 0
	v_lshlrev_b32_e32 v2, 2, v8
	v_mad_co_u64_u32 v[43:44], null, s8, v7, 0
	s_delay_alu instid0(VALU_DEP_4) | instskip(NEXT) | instid1(VALU_DEP_3)
	v_add_co_u32 v25, vcc_lo, s4, v25
	v_lshlrev_b64_e32 v[29:30], 2, v[2:3]
	v_lshlrev_b32_e32 v2, 2, v4
	s_wait_alu 0xfffd
	v_add_co_ci_u32_e32 v26, vcc_lo, s5, v26, vcc_lo
	v_add_nc_u32_e32 v60, 0x2be, v4
	v_add_nc_u32_e32 v61, 0x41d, v4
	v_lshlrev_b64_e32 v[2:3], 2, v[2:3]
	v_add_co_u32 v29, vcc_lo, s4, v29
	global_load_b128 v[25:28], v[25:26], off offset:1352
	s_wait_alu 0xfffd
	v_add_co_ci_u32_e32 v30, vcc_lo, s5, v30, vcc_lo
	v_add_co_u32 v2, vcc_lo, s4, v2
	s_wait_alu 0xfffd
	v_add_co_ci_u32_e32 v3, vcc_lo, s5, v3, vcc_lo
	global_load_b128 v[29:32], v[29:30], off offset:1352
	v_add_nc_u32_e32 v63, 0x333, v4
	v_mad_co_u64_u32 v[45:46], null, s8, v60, 0
	global_load_b128 v[33:36], v[2:3], off offset:1352
	ds_load_u16 v65, v6 offset:1872
	ds_load_u16 v66, v6 offset:1638
	;; [unrolled: 1-line block ×14, first 2 shown]
	ds_load_u16 v78, v6
	v_dual_mov_b32 v6, v40 :: v_dual_add_nc_u32 v79, 0x5f1, v4
	v_mov_b32_e32 v40, v44
	v_mad_co_u64_u32 v[47:48], null, s8, v61, 0
	v_dual_mov_b32 v3, v38 :: v_dual_mov_b32 v38, v42
	v_add_nc_u32_e32 v64, 0x492, v4
	v_mad_co_u64_u32 v[51:52], null, s8, v63, 0
	v_mad_co_u64_u32 v[57:58], null, s9, v9, v[6:7]
	s_delay_alu instid0(VALU_DEP_4)
	v_mad_co_u64_u32 v[58:59], null, s9, v8, v[38:39]
	v_mad_co_u64_u32 v[7:8], null, s9, v7, v[40:41]
	;; [unrolled: 1-line block ×4, first 2 shown]
	v_mov_b32_e32 v4, v46
	v_mov_b32_e32 v6, v48
	v_mul_hi_u32 v80, 0x756cac21, v5
	v_dual_mov_b32 v9, v50 :: v_dual_mov_b32 v8, v52
	s_delay_alu instid0(VALU_DEP_4) | instskip(NEXT) | instid1(VALU_DEP_4)
	v_mad_co_u64_u32 v[59:60], null, s9, v60, v[4:5]
	v_mad_co_u64_u32 v[60:61], null, s9, v61, v[6:7]
	v_mov_b32_e32 v38, v54
	s_delay_alu instid0(VALU_DEP_4) | instskip(SKIP_4) | instid1(VALU_DEP_3)
	v_mad_co_u64_u32 v[61:62], null, s9, v62, v[9:10]
	v_mad_co_u64_u32 v[8:9], null, s9, v63, v[8:9]
	v_sub_nc_u32_e32 v42, v5, v80
	v_mad_co_u64_u32 v[55:56], null, s8, v79, 0
	v_mad_co_u64_u32 v[62:63], null, s9, v64, v[38:39]
	v_lshrrev_b32_e32 v42, 1, v42
	v_mov_b32_e32 v40, v57
	v_mov_b32_e32 v44, v7
	v_mov_b32_e32 v46, v59
	v_mov_b32_e32 v50, v61
	v_mov_b32_e32 v52, v8
	v_mov_b32_e32 v4, v56
	v_mov_b32_e32 v38, v3
	v_add_nc_u32_e32 v56, v42, v80
	v_mov_b32_e32 v42, v58
	v_lshlrev_b64_e32 v[6:7], 2, v[39:40]
	v_mov_b32_e32 v48, v60
	v_lshlrev_b64_e32 v[39:40], 2, v[43:44]
	;; [unrolled: 2-line block ×3, first 2 shown]
	v_lshlrev_b64_e32 v[43:44], 2, v[49:50]
	v_lshlrev_b64_e32 v[45:46], 2, v[51:52]
	v_mad_co_u64_u32 v[63:64], null, s9, v79, v[4:5]
	v_lshlrev_b64_e32 v[3:4], 2, v[37:38]
	v_lshlrev_b64_e32 v[37:38], 2, v[41:42]
	;; [unrolled: 1-line block ×4, first 2 shown]
	v_add_co_u32 v0, vcc_lo, s10, v0
	s_wait_alu 0xfffd
	v_add_co_ci_u32_e32 v1, vcc_lo, s11, v1, vcc_lo
	s_delay_alu instid0(VALU_DEP_2) | instskip(SKIP_1) | instid1(VALU_DEP_2)
	v_add_co_u32 v3, vcc_lo, v0, v3
	s_wait_alu 0xfffd
	v_add_co_ci_u32_e32 v4, vcc_lo, v1, v4, vcc_lo
	v_add_co_u32 v6, vcc_lo, v0, v6
	s_wait_alu 0xfffd
	v_add_co_ci_u32_e32 v7, vcc_lo, v1, v7, vcc_lo
	;; [unrolled: 3-line block ×8, first 2 shown]
	s_wait_loadcnt 0x2
	v_lshrrev_b32_e32 v49, 16, v25
	v_lshrrev_b32_e32 v50, 16, v26
	;; [unrolled: 1-line block ×4, first 2 shown]
	s_delay_alu instid0(VALU_DEP_4) | instskip(NEXT) | instid1(VALU_DEP_4)
	v_mul_f16_e32 v53, v21, v49
	v_mul_f16_e32 v54, v24, v50
	s_delay_alu instid0(VALU_DEP_4) | instskip(NEXT) | instid1(VALU_DEP_4)
	v_mul_f16_e32 v58, v22, v51
	v_mul_f16_e32 v57, v23, v52
	s_wait_dscnt 0xb
	v_mul_f16_e32 v49, v68, v49
	s_wait_dscnt 0x8
	v_mul_f16_e32 v52, v71, v52
	v_mul_f16_e32 v50, v65, v50
	s_wait_dscnt 0x5
	v_mul_f16_e32 v51, v74, v51
	s_wait_loadcnt 0x1
	v_lshrrev_b32_e32 v59, 16, v29
	v_lshrrev_b32_e32 v60, 16, v30
	;; [unrolled: 1-line block ×4, first 2 shown]
	v_fma_f16 v53, v68, v25, -v53
	v_fma_f16 v54, v65, v26, -v54
	;; [unrolled: 1-line block ×4, first 2 shown]
	v_fmac_f16_e32 v49, v21, v25
	v_fmac_f16_e32 v52, v23, v28
	;; [unrolled: 1-line block ×4, first 2 shown]
	v_mul_f16_e32 v21, v17, v59
	v_mul_f16_e32 v22, v18, v60
	v_mul_f16_e32 v23, v20, v62
	v_mul_f16_e32 v24, v19, v61
	v_mul_f16_e32 v25, v66, v60
	s_wait_dscnt 0x4
	v_mul_f16_e32 v26, v75, v61
	v_mul_f16_e32 v27, v69, v59
	;; [unrolled: 1-line block ×3, first 2 shown]
	s_wait_loadcnt 0x0
	v_lshrrev_b32_e32 v59, 16, v33
	v_lshrrev_b32_e32 v60, 16, v34
	;; [unrolled: 1-line block ×4, first 2 shown]
	v_sub_f16_e32 v64, v53, v54
	v_sub_f16_e32 v65, v57, v58
	v_sub_f16_e32 v71, v49, v52
	v_sub_f16_e32 v79, v49, v50
	v_sub_f16_e32 v80, v52, v51
	v_sub_f16_e32 v82, v53, v57
	v_sub_f16_e32 v84, v54, v53
	v_sub_f16_e32 v85, v58, v57
	v_add_f16_e32 v86, v53, v57
	v_sub_f16_e32 v87, v50, v49
	v_sub_f16_e32 v88, v51, v52
	v_add_f16_e32 v89, v49, v52
	s_wait_dscnt 0x2
	v_add_f16_e32 v53, v53, v77
	v_add_f16_e32 v49, v16, v49
	v_fma_f16 v21, v69, v29, -v21
	v_fma_f16 v22, v66, v30, -v22
	v_fma_f16 v23, v72, v32, -v23
	v_fma_f16 v24, v75, v31, -v24
	v_fmac_f16_e32 v25, v18, v30
	v_fmac_f16_e32 v26, v19, v31
	v_fmac_f16_e32 v27, v17, v29
	v_fmac_f16_e32 v28, v20, v32
	v_mul_f16_e32 v17, v13, v59
	v_mul_f16_e32 v18, v12, v60
	;; [unrolled: 1-line block ×8, first 2 shown]
	v_add_f16_e32 v68, v54, v58
	v_sub_f16_e32 v74, v50, v51
	v_add_f16_e32 v81, v50, v51
	v_sub_f16_e32 v83, v54, v58
	v_add_f16_e32 v59, v64, v65
	v_add_f16_e32 v61, v79, v80
	;; [unrolled: 1-line block ×6, first 2 shown]
	v_sub_f16_e32 v50, v21, v22
	v_sub_f16_e32 v54, v23, v24
	;; [unrolled: 1-line block ×3, first 2 shown]
	v_add_f16_e32 v72, v22, v24
	v_sub_f16_e32 v75, v27, v25
	v_add_f16_e32 v79, v25, v26
	s_wait_dscnt 0x1
	v_add_f16_e32 v84, v21, v2
	v_add_f16_e32 v85, v10, v27
	v_sub_f16_e32 v88, v25, v27
	v_add_f16_e32 v27, v27, v28
	v_fma_f16 v17, v70, v33, -v17
	v_fma_f16 v18, v67, v34, -v18
	;; [unrolled: 1-line block ×4, first 2 shown]
	v_fmac_f16_e32 v29, v13, v33
	v_fmac_f16_e32 v30, v15, v36
	;; [unrolled: 1-line block ×4, first 2 shown]
	v_fma_f16 v65, -0.5, v86, v77
	v_sub_f16_e32 v86, v22, v21
	v_sub_f16_e32 v87, v24, v23
	v_fma_f16 v60, -0.5, v68, v77
	v_sub_f16_e32 v77, v28, v26
	v_fma_f16 v62, -0.5, v81, v16
	v_sub_f16_e32 v68, v25, v26
	v_sub_f16_e32 v80, v21, v23
	;; [unrolled: 1-line block ×3, first 2 shown]
	v_add_f16_e32 v21, v21, v23
	v_add_f16_e32 v12, v58, v53
	;; [unrolled: 1-line block ×3, first 2 shown]
	v_fma_f16 v15, -0.5, v72, v2
	v_fma_f16 v50, -0.5, v79, v10
	v_add_f16_e32 v22, v22, v84
	v_add_f16_e32 v25, v85, v25
	v_fmac_f16_e32 v10, -0.5, v27
	v_sub_f16_e32 v27, v17, v18
	v_sub_f16_e32 v53, v19, v20
	v_add_f16_e32 v54, v18, v20
	v_sub_f16_e32 v70, v29, v31
	v_sub_f16_e32 v72, v30, v32
	v_add_f16_e32 v73, v31, v32
	v_add_f16_e32 v13, v49, v51
	;; [unrolled: 1-line block ×6, first 2 shown]
	v_sub_f16_e32 v58, v29, v30
	v_sub_f16_e32 v75, v17, v19
	;; [unrolled: 1-line block ×4, first 2 shown]
	s_wait_dscnt 0x0
	v_add_f16_e32 v17, v17, v78
	v_add_f16_e32 v29, v11, v29
	v_fmac_f16_e32 v2, -0.5, v21
	v_add_f16_e32 v22, v24, v22
	v_add_f16_e32 v24, v25, v26
	;; [unrolled: 1-line block ×3, first 2 shown]
	v_fma_f16 v53, -0.5, v54, v78
	v_add_f16_e32 v54, v70, v72
	v_fma_f16 v70, -0.5, v73, v11
	v_sub_f16_e32 v67, v31, v32
	v_sub_f16_e32 v76, v18, v20
	v_fma_f16 v72, -0.5, v84, v78
	v_fma_f16 v11, -0.5, v87, v11
	v_add_f16_e32 v57, v57, v12
	v_fmamk_f16 v12, v69, 0x3b9c, v15
	v_fmac_f16_e32 v15, 0xbb9c, v69
	v_add_f16_e32 v17, v18, v17
	v_add_f16_e32 v18, v29, v31
	v_fma_f16 v16, -0.5, v89, v16
	v_sub_f16_e32 v89, v26, v28
	v_fmamk_f16 v25, v68, 0x3b9c, v2
	v_fmac_f16_e32 v2, 0xbb9c, v68
	v_fmamk_f16 v26, v81, 0xbb9c, v10
	v_fmac_f16_e32 v10, 0x3b9c, v81
	v_add_f16_e32 v22, v23, v22
	v_add_f16_e32 v23, v28, v24
	v_fmamk_f16 v24, v58, 0xbb9c, v53
	v_fmamk_f16 v28, v75, 0x3b9c, v70
	v_fmac_f16_e32 v53, 0x3b9c, v58
	v_fmac_f16_e32 v70, 0xbb9c, v75
	v_fmamk_f16 v35, v74, 0x3b9c, v65
	v_fmac_f16_e32 v65, 0xbb9c, v74
	v_sub_f16_e32 v79, v20, v19
	v_sub_f16_e32 v86, v32, v30
	v_fmamk_f16 v29, v67, 0x3b9c, v72
	v_fmamk_f16 v31, v76, 0xbb9c, v11
	v_fmac_f16_e32 v72, 0xbb9c, v67
	v_fmac_f16_e32 v11, 0x3b9c, v76
	v_add_f16_e32 v52, v52, v13
	v_fmamk_f16 v13, v80, 0xbb9c, v50
	v_fmac_f16_e32 v12, 0x38b4, v68
	v_fmac_f16_e32 v15, 0xb8b4, v68
	v_add_f16_e32 v17, v20, v17
	v_add_f16_e32 v18, v18, v32
	;; [unrolled: 1-line block ×3, first 2 shown]
	v_fmac_f16_e32 v2, 0x38b4, v69
	v_fmac_f16_e32 v10, 0xb8b4, v80
	v_fmac_f16_e32 v53, 0x38b4, v67
	v_fmac_f16_e32 v70, 0xb8b4, v76
	v_fmamk_f16 v33, v71, 0xbb9c, v60
	v_fmac_f16_e32 v60, 0x3b9c, v71
	v_fmac_f16_e32 v35, 0xb8b4, v71
	;; [unrolled: 1-line block ×3, first 2 shown]
	v_add_f16_e32 v71, v77, v79
	v_add_f16_e32 v73, v85, v86
	v_fmac_f16_e32 v72, 0x38b4, v58
	v_fmac_f16_e32 v11, 0xb8b4, v75
	;; [unrolled: 1-line block ×9, first 2 shown]
	v_add_f16_e32 v14, v19, v17
	v_add_f16_e32 v17, v30, v18
	v_fmac_f16_e32 v2, 0x34f2, v51
	v_fmac_f16_e32 v10, 0x34f2, v21
	;; [unrolled: 1-line block ×11, first 2 shown]
	v_pack_b32_f16 v14, v17, v14
	v_pack_b32_f16 v10, v10, v2
	;; [unrolled: 1-line block ×3, first 2 shown]
	v_fmac_f16_e32 v25, 0xb8b4, v69
	v_fmac_f16_e32 v26, 0x38b4, v80
	v_pack_b32_f16 v11, v11, v72
	v_pack_b32_f16 v12, v13, v12
	;; [unrolled: 1-line block ×5, first 2 shown]
	s_clause 0x5
	global_store_b32 v[3:4], v14, off
	global_store_b32 v[6:7], v2, off
	;; [unrolled: 1-line block ×6, first 2 shown]
	v_lshrrev_b32_e32 v4, 8, v56
	v_fmac_f16_e32 v25, 0x34f2, v51
	v_fmac_f16_e32 v26, 0x34f2, v21
	v_add_co_u32 v2, vcc_lo, v0, v47
	s_delay_alu instid0(VALU_DEP_4)
	v_mad_u32_u24 v14, 0x57c, v4, v5
	s_wait_alu 0xfffd
	v_add_co_ci_u32_e32 v3, vcc_lo, v1, v48, vcc_lo
	v_pack_b32_f16 v6, v26, v25
	s_clause 0x2
	global_store_b32 v[39:40], v12, off
	global_store_b32 v[45:46], v10, off
	;; [unrolled: 1-line block ×3, first 2 shown]
	v_add_nc_u32_e32 v12, 0x15f, v14
	v_add_nc_u32_e32 v17, 0x2be, v14
	v_mad_co_u64_u32 v[4:5], null, s8, v14, 0
	v_fmac_f16_e32 v50, 0x3b9c, v80
	s_delay_alu instid0(VALU_DEP_4) | instskip(SKIP_2) | instid1(VALU_DEP_4)
	v_mad_co_u64_u32 v[6:7], null, s8, v12, 0
	v_mov_b32_e32 v56, v63
	v_mad_co_u64_u32 v[8:9], null, s8, v17, 0
	v_fmac_f16_e32 v50, 0x38b4, v81
	v_add_nc_u32_e32 v18, 0x41d, v14
	s_delay_alu instid0(VALU_DEP_4) | instskip(SKIP_1) | instid1(VALU_DEP_4)
	v_lshlrev_b64_e32 v[2:3], 2, v[55:56]
	v_mad_co_u64_u32 v[10:11], null, s9, v14, v[5:6]
	v_fmac_f16_e32 v50, 0x34f2, v49
	v_mad_co_u64_u32 v[11:12], null, s9, v12, v[7:8]
	v_mov_b32_e32 v7, v9
	v_mad_co_u64_u32 v[12:13], null, s8, v18, 0
	v_add_co_u32 v2, vcc_lo, v0, v2
	v_add_nc_u32_e32 v14, 0x57c, v14
	s_wait_alu 0xfffd
	v_add_co_ci_u32_e32 v3, vcc_lo, v1, v3, vcc_lo
	v_pack_b32_f16 v15, v50, v15
	v_mov_b32_e32 v5, v10
	v_mad_co_u64_u32 v[9:10], null, s9, v17, v[7:8]
	v_mov_b32_e32 v7, v11
	v_mad_co_u64_u32 v[10:11], null, s8, v14, 0
	global_store_b32 v[2:3], v15, off
	v_lshlrev_b64_e32 v[2:3], 2, v[4:5]
	v_mov_b32_e32 v4, v13
	v_lshlrev_b64_e32 v[6:7], 2, v[6:7]
	v_fmamk_f16 v34, v82, 0x3b9c, v62
	v_fmac_f16_e32 v62, 0xbb9c, v82
	v_fmamk_f16 v36, v83, 0xbb9c, v16
	v_mad_co_u64_u32 v[4:5], null, s9, v18, v[4:5]
	v_mov_b32_e32 v5, v11
	v_fmac_f16_e32 v16, 0x3b9c, v83
	v_add_co_u32 v2, vcc_lo, v0, v2
	s_wait_alu 0xfffd
	v_add_co_ci_u32_e32 v3, vcc_lo, v1, v3, vcc_lo
	v_mad_co_u64_u32 v[14:15], null, s9, v14, v[5:6]
	v_mov_b32_e32 v13, v4
	v_lshlrev_b64_e32 v[8:9], 2, v[8:9]
	v_fmac_f16_e32 v60, 0x38b4, v74
	v_fmac_f16_e32 v62, 0xb8b4, v83
	v_add_co_u32 v4, vcc_lo, v0, v6
	v_mov_b32_e32 v11, v14
	v_fmac_f16_e32 v16, 0xb8b4, v82
	v_fmac_f16_e32 v36, 0x38b4, v82
	s_wait_alu 0xfffd
	v_add_co_ci_u32_e32 v5, vcc_lo, v1, v7, vcc_lo
	v_lshlrev_b64_e32 v[6:7], 2, v[12:13]
	v_fmac_f16_e32 v33, 0xb8b4, v74
	v_fmac_f16_e32 v34, 0x38b4, v83
	;; [unrolled: 1-line block ×4, first 2 shown]
	v_add_co_u32 v8, vcc_lo, v0, v8
	v_lshlrev_b64_e32 v[10:11], 2, v[10:11]
	v_fmac_f16_e32 v65, 0x34f2, v64
	v_fmac_f16_e32 v16, 0x34f2, v66
	;; [unrolled: 1-line block ×4, first 2 shown]
	s_wait_alu 0xfffd
	v_add_co_ci_u32_e32 v9, vcc_lo, v1, v9, vcc_lo
	v_fmac_f16_e32 v33, 0x34f2, v59
	v_fmac_f16_e32 v34, 0x34f2, v61
	v_add_co_u32 v6, vcc_lo, v0, v6
	v_pack_b32_f16 v17, v52, v57
	v_pack_b32_f16 v15, v62, v60
	s_wait_alu 0xfffd
	v_add_co_ci_u32_e32 v7, vcc_lo, v1, v7, vcc_lo
	v_pack_b32_f16 v12, v16, v65
	v_add_co_u32 v0, vcc_lo, v0, v10
	v_pack_b32_f16 v13, v36, v35
	s_wait_alu 0xfffd
	v_add_co_ci_u32_e32 v1, vcc_lo, v1, v11, vcc_lo
	v_pack_b32_f16 v10, v34, v33
	s_clause 0x4
	global_store_b32 v[2:3], v17, off
	global_store_b32 v[4:5], v15, off
	;; [unrolled: 1-line block ×5, first 2 shown]
.LBB0_19:
	s_nop 0
	s_sendmsg sendmsg(MSG_DEALLOC_VGPRS)
	s_endpgm
	.section	.rodata,"a",@progbits
	.p2align	6, 0x0
	.amdhsa_kernel fft_rtc_back_len1755_factors_13_3_3_3_5_wgs_117_tpt_117_halfLds_half_ip_CI_sbrr_dirReg
		.amdhsa_group_segment_fixed_size 0
		.amdhsa_private_segment_fixed_size 0
		.amdhsa_kernarg_size 88
		.amdhsa_user_sgpr_count 2
		.amdhsa_user_sgpr_dispatch_ptr 0
		.amdhsa_user_sgpr_queue_ptr 0
		.amdhsa_user_sgpr_kernarg_segment_ptr 1
		.amdhsa_user_sgpr_dispatch_id 0
		.amdhsa_user_sgpr_private_segment_size 0
		.amdhsa_wavefront_size32 1
		.amdhsa_uses_dynamic_stack 0
		.amdhsa_enable_private_segment 0
		.amdhsa_system_sgpr_workgroup_id_x 1
		.amdhsa_system_sgpr_workgroup_id_y 0
		.amdhsa_system_sgpr_workgroup_id_z 0
		.amdhsa_system_sgpr_workgroup_info 0
		.amdhsa_system_vgpr_workitem_id 0
		.amdhsa_next_free_vgpr 90
		.amdhsa_next_free_sgpr 35
		.amdhsa_reserve_vcc 1
		.amdhsa_float_round_mode_32 0
		.amdhsa_float_round_mode_16_64 0
		.amdhsa_float_denorm_mode_32 3
		.amdhsa_float_denorm_mode_16_64 3
		.amdhsa_fp16_overflow 0
		.amdhsa_workgroup_processor_mode 1
		.amdhsa_memory_ordered 1
		.amdhsa_forward_progress 0
		.amdhsa_round_robin_scheduling 0
		.amdhsa_exception_fp_ieee_invalid_op 0
		.amdhsa_exception_fp_denorm_src 0
		.amdhsa_exception_fp_ieee_div_zero 0
		.amdhsa_exception_fp_ieee_overflow 0
		.amdhsa_exception_fp_ieee_underflow 0
		.amdhsa_exception_fp_ieee_inexact 0
		.amdhsa_exception_int_div_zero 0
	.end_amdhsa_kernel
	.text
.Lfunc_end0:
	.size	fft_rtc_back_len1755_factors_13_3_3_3_5_wgs_117_tpt_117_halfLds_half_ip_CI_sbrr_dirReg, .Lfunc_end0-fft_rtc_back_len1755_factors_13_3_3_3_5_wgs_117_tpt_117_halfLds_half_ip_CI_sbrr_dirReg
                                        ; -- End function
	.section	.AMDGPU.csdata,"",@progbits
; Kernel info:
; codeLenInByte = 15756
; NumSgprs: 37
; NumVgprs: 90
; ScratchSize: 0
; MemoryBound: 0
; FloatMode: 240
; IeeeMode: 1
; LDSByteSize: 0 bytes/workgroup (compile time only)
; SGPRBlocks: 4
; VGPRBlocks: 11
; NumSGPRsForWavesPerEU: 37
; NumVGPRsForWavesPerEU: 90
; Occupancy: 16
; WaveLimiterHint : 1
; COMPUTE_PGM_RSRC2:SCRATCH_EN: 0
; COMPUTE_PGM_RSRC2:USER_SGPR: 2
; COMPUTE_PGM_RSRC2:TRAP_HANDLER: 0
; COMPUTE_PGM_RSRC2:TGID_X_EN: 1
; COMPUTE_PGM_RSRC2:TGID_Y_EN: 0
; COMPUTE_PGM_RSRC2:TGID_Z_EN: 0
; COMPUTE_PGM_RSRC2:TIDIG_COMP_CNT: 0
	.text
	.p2alignl 7, 3214868480
	.fill 96, 4, 3214868480
	.type	__hip_cuid_9890b2b1a47d9f2,@object ; @__hip_cuid_9890b2b1a47d9f2
	.section	.bss,"aw",@nobits
	.globl	__hip_cuid_9890b2b1a47d9f2
__hip_cuid_9890b2b1a47d9f2:
	.byte	0                               ; 0x0
	.size	__hip_cuid_9890b2b1a47d9f2, 1

	.ident	"AMD clang version 19.0.0git (https://github.com/RadeonOpenCompute/llvm-project roc-6.4.0 25133 c7fe45cf4b819c5991fe208aaa96edf142730f1d)"
	.section	".note.GNU-stack","",@progbits
	.addrsig
	.addrsig_sym __hip_cuid_9890b2b1a47d9f2
	.amdgpu_metadata
---
amdhsa.kernels:
  - .args:
      - .actual_access:  read_only
        .address_space:  global
        .offset:         0
        .size:           8
        .value_kind:     global_buffer
      - .offset:         8
        .size:           8
        .value_kind:     by_value
      - .actual_access:  read_only
        .address_space:  global
        .offset:         16
        .size:           8
        .value_kind:     global_buffer
      - .actual_access:  read_only
        .address_space:  global
        .offset:         24
        .size:           8
        .value_kind:     global_buffer
      - .offset:         32
        .size:           8
        .value_kind:     by_value
      - .actual_access:  read_only
        .address_space:  global
        .offset:         40
        .size:           8
        .value_kind:     global_buffer
      - .actual_access:  read_only
        .address_space:  global
        .offset:         48
        .size:           8
        .value_kind:     global_buffer
      - .offset:         56
        .size:           4
        .value_kind:     by_value
      - .actual_access:  read_only
        .address_space:  global
        .offset:         64
        .size:           8
        .value_kind:     global_buffer
      - .actual_access:  read_only
        .address_space:  global
        .offset:         72
        .size:           8
        .value_kind:     global_buffer
      - .address_space:  global
        .offset:         80
        .size:           8
        .value_kind:     global_buffer
    .group_segment_fixed_size: 0
    .kernarg_segment_align: 8
    .kernarg_segment_size: 88
    .language:       OpenCL C
    .language_version:
      - 2
      - 0
    .max_flat_workgroup_size: 117
    .name:           fft_rtc_back_len1755_factors_13_3_3_3_5_wgs_117_tpt_117_halfLds_half_ip_CI_sbrr_dirReg
    .private_segment_fixed_size: 0
    .sgpr_count:     37
    .sgpr_spill_count: 0
    .symbol:         fft_rtc_back_len1755_factors_13_3_3_3_5_wgs_117_tpt_117_halfLds_half_ip_CI_sbrr_dirReg.kd
    .uniform_work_group_size: 1
    .uses_dynamic_stack: false
    .vgpr_count:     90
    .vgpr_spill_count: 0
    .wavefront_size: 32
    .workgroup_processor_mode: 1
amdhsa.target:   amdgcn-amd-amdhsa--gfx1201
amdhsa.version:
  - 1
  - 2
...

	.end_amdgpu_metadata
